;; amdgpu-corpus repo=ROCm/rocFFT kind=compiled arch=gfx1030 opt=O3
	.text
	.amdgcn_target "amdgcn-amd-amdhsa--gfx1030"
	.amdhsa_code_object_version 6
	.protected	fft_rtc_fwd_len4050_factors_10_5_3_3_3_3_wgs_135_tpt_135_halfLds_dp_ip_CI_unitstride_sbrr_dirReg ; -- Begin function fft_rtc_fwd_len4050_factors_10_5_3_3_3_3_wgs_135_tpt_135_halfLds_dp_ip_CI_unitstride_sbrr_dirReg
	.globl	fft_rtc_fwd_len4050_factors_10_5_3_3_3_3_wgs_135_tpt_135_halfLds_dp_ip_CI_unitstride_sbrr_dirReg
	.p2align	8
	.type	fft_rtc_fwd_len4050_factors_10_5_3_3_3_3_wgs_135_tpt_135_halfLds_dp_ip_CI_unitstride_sbrr_dirReg,@function
fft_rtc_fwd_len4050_factors_10_5_3_3_3_3_wgs_135_tpt_135_halfLds_dp_ip_CI_unitstride_sbrr_dirReg: ; @fft_rtc_fwd_len4050_factors_10_5_3_3_3_3_wgs_135_tpt_135_halfLds_dp_ip_CI_unitstride_sbrr_dirReg
; %bb.0:
	s_clause 0x2
	s_load_dwordx4 s[8:11], s[4:5], 0x0
	s_load_dwordx2 s[2:3], s[4:5], 0x50
	s_load_dwordx2 s[12:13], s[4:5], 0x18
	v_mul_u32_u24_e32 v1, 0x1e6, v0
	v_mov_b32_e32 v3, 0
	v_add_nc_u32_sdwa v5, s6, v1 dst_sel:DWORD dst_unused:UNUSED_PAD src0_sel:DWORD src1_sel:WORD_1
	v_mov_b32_e32 v1, 0
	v_mov_b32_e32 v6, v3
	v_mov_b32_e32 v2, 0
	s_waitcnt lgkmcnt(0)
	v_cmp_lt_u64_e64 s0, s[10:11], 2
	s_and_b32 vcc_lo, exec_lo, s0
	s_cbranch_vccnz .LBB0_8
; %bb.1:
	s_load_dwordx2 s[0:1], s[4:5], 0x10
	v_mov_b32_e32 v1, 0
	s_add_u32 s6, s12, 8
	v_mov_b32_e32 v2, 0
	s_addc_u32 s7, s13, 0
	s_mov_b64 s[16:17], 1
	s_waitcnt lgkmcnt(0)
	s_add_u32 s14, s0, 8
	s_addc_u32 s15, s1, 0
.LBB0_2:                                ; =>This Inner Loop Header: Depth=1
	s_load_dwordx2 s[18:19], s[14:15], 0x0
                                        ; implicit-def: $vgpr7_vgpr8
	s_mov_b32 s0, exec_lo
	s_waitcnt lgkmcnt(0)
	v_or_b32_e32 v4, s19, v6
	v_cmpx_ne_u64_e32 0, v[3:4]
	s_xor_b32 s1, exec_lo, s0
	s_cbranch_execz .LBB0_4
; %bb.3:                                ;   in Loop: Header=BB0_2 Depth=1
	v_cvt_f32_u32_e32 v4, s18
	v_cvt_f32_u32_e32 v7, s19
	s_sub_u32 s0, 0, s18
	s_subb_u32 s20, 0, s19
	v_fmac_f32_e32 v4, 0x4f800000, v7
	v_rcp_f32_e32 v4, v4
	v_mul_f32_e32 v4, 0x5f7ffffc, v4
	v_mul_f32_e32 v7, 0x2f800000, v4
	v_trunc_f32_e32 v7, v7
	v_fmac_f32_e32 v4, 0xcf800000, v7
	v_cvt_u32_f32_e32 v7, v7
	v_cvt_u32_f32_e32 v4, v4
	v_mul_lo_u32 v8, s0, v7
	v_mul_hi_u32 v9, s0, v4
	v_mul_lo_u32 v10, s20, v4
	v_add_nc_u32_e32 v8, v9, v8
	v_mul_lo_u32 v9, s0, v4
	v_add_nc_u32_e32 v8, v8, v10
	v_mul_hi_u32 v10, v4, v9
	v_mul_lo_u32 v11, v4, v8
	v_mul_hi_u32 v12, v4, v8
	v_mul_hi_u32 v13, v7, v9
	v_mul_lo_u32 v9, v7, v9
	v_mul_hi_u32 v14, v7, v8
	v_mul_lo_u32 v8, v7, v8
	v_add_co_u32 v10, vcc_lo, v10, v11
	v_add_co_ci_u32_e32 v11, vcc_lo, 0, v12, vcc_lo
	v_add_co_u32 v9, vcc_lo, v10, v9
	v_add_co_ci_u32_e32 v9, vcc_lo, v11, v13, vcc_lo
	v_add_co_ci_u32_e32 v10, vcc_lo, 0, v14, vcc_lo
	v_add_co_u32 v8, vcc_lo, v9, v8
	v_add_co_ci_u32_e32 v9, vcc_lo, 0, v10, vcc_lo
	v_add_co_u32 v4, vcc_lo, v4, v8
	v_add_co_ci_u32_e32 v7, vcc_lo, v7, v9, vcc_lo
	v_mul_hi_u32 v8, s0, v4
	v_mul_lo_u32 v10, s20, v4
	v_mul_lo_u32 v9, s0, v7
	v_add_nc_u32_e32 v8, v8, v9
	v_mul_lo_u32 v9, s0, v4
	v_add_nc_u32_e32 v8, v8, v10
	v_mul_hi_u32 v10, v4, v9
	v_mul_lo_u32 v11, v4, v8
	v_mul_hi_u32 v12, v4, v8
	v_mul_hi_u32 v13, v7, v9
	v_mul_lo_u32 v9, v7, v9
	v_mul_hi_u32 v14, v7, v8
	v_mul_lo_u32 v8, v7, v8
	v_add_co_u32 v10, vcc_lo, v10, v11
	v_add_co_ci_u32_e32 v11, vcc_lo, 0, v12, vcc_lo
	v_add_co_u32 v9, vcc_lo, v10, v9
	v_add_co_ci_u32_e32 v9, vcc_lo, v11, v13, vcc_lo
	v_add_co_ci_u32_e32 v10, vcc_lo, 0, v14, vcc_lo
	v_add_co_u32 v8, vcc_lo, v9, v8
	v_add_co_ci_u32_e32 v9, vcc_lo, 0, v10, vcc_lo
	v_add_co_u32 v4, vcc_lo, v4, v8
	v_add_co_ci_u32_e32 v11, vcc_lo, v7, v9, vcc_lo
	v_mul_hi_u32 v13, v5, v4
	v_mad_u64_u32 v[9:10], null, v6, v4, 0
	v_mad_u64_u32 v[7:8], null, v5, v11, 0
	;; [unrolled: 1-line block ×3, first 2 shown]
	v_add_co_u32 v4, vcc_lo, v13, v7
	v_add_co_ci_u32_e32 v7, vcc_lo, 0, v8, vcc_lo
	v_add_co_u32 v4, vcc_lo, v4, v9
	v_add_co_ci_u32_e32 v4, vcc_lo, v7, v10, vcc_lo
	v_add_co_ci_u32_e32 v7, vcc_lo, 0, v12, vcc_lo
	v_add_co_u32 v4, vcc_lo, v4, v11
	v_add_co_ci_u32_e32 v9, vcc_lo, 0, v7, vcc_lo
	v_mul_lo_u32 v10, s19, v4
	v_mad_u64_u32 v[7:8], null, s18, v4, 0
	v_mul_lo_u32 v11, s18, v9
	v_sub_co_u32 v7, vcc_lo, v5, v7
	v_add3_u32 v8, v8, v11, v10
	v_sub_nc_u32_e32 v10, v6, v8
	v_subrev_co_ci_u32_e64 v10, s0, s19, v10, vcc_lo
	v_add_co_u32 v11, s0, v4, 2
	v_add_co_ci_u32_e64 v12, s0, 0, v9, s0
	v_sub_co_u32 v13, s0, v7, s18
	v_sub_co_ci_u32_e32 v8, vcc_lo, v6, v8, vcc_lo
	v_subrev_co_ci_u32_e64 v10, s0, 0, v10, s0
	v_cmp_le_u32_e32 vcc_lo, s18, v13
	v_cmp_eq_u32_e64 s0, s19, v8
	v_cndmask_b32_e64 v13, 0, -1, vcc_lo
	v_cmp_le_u32_e32 vcc_lo, s19, v10
	v_cndmask_b32_e64 v14, 0, -1, vcc_lo
	v_cmp_le_u32_e32 vcc_lo, s18, v7
	;; [unrolled: 2-line block ×3, first 2 shown]
	v_cndmask_b32_e64 v15, 0, -1, vcc_lo
	v_cmp_eq_u32_e32 vcc_lo, s19, v10
	v_cndmask_b32_e64 v7, v15, v7, s0
	v_cndmask_b32_e32 v10, v14, v13, vcc_lo
	v_add_co_u32 v13, vcc_lo, v4, 1
	v_add_co_ci_u32_e32 v14, vcc_lo, 0, v9, vcc_lo
	v_cmp_ne_u32_e32 vcc_lo, 0, v10
	v_cndmask_b32_e32 v8, v14, v12, vcc_lo
	v_cndmask_b32_e32 v10, v13, v11, vcc_lo
	v_cmp_ne_u32_e32 vcc_lo, 0, v7
	v_cndmask_b32_e32 v8, v9, v8, vcc_lo
	v_cndmask_b32_e32 v7, v4, v10, vcc_lo
.LBB0_4:                                ;   in Loop: Header=BB0_2 Depth=1
	s_andn2_saveexec_b32 s0, s1
	s_cbranch_execz .LBB0_6
; %bb.5:                                ;   in Loop: Header=BB0_2 Depth=1
	v_cvt_f32_u32_e32 v4, s18
	s_sub_i32 s1, 0, s18
	v_rcp_iflag_f32_e32 v4, v4
	v_mul_f32_e32 v4, 0x4f7ffffe, v4
	v_cvt_u32_f32_e32 v4, v4
	v_mul_lo_u32 v7, s1, v4
	v_mul_hi_u32 v7, v4, v7
	v_add_nc_u32_e32 v4, v4, v7
	v_mul_hi_u32 v4, v5, v4
	v_mul_lo_u32 v7, v4, s18
	v_add_nc_u32_e32 v8, 1, v4
	v_sub_nc_u32_e32 v7, v5, v7
	v_subrev_nc_u32_e32 v9, s18, v7
	v_cmp_le_u32_e32 vcc_lo, s18, v7
	v_cndmask_b32_e32 v7, v7, v9, vcc_lo
	v_cndmask_b32_e32 v4, v4, v8, vcc_lo
	v_cmp_le_u32_e32 vcc_lo, s18, v7
	v_add_nc_u32_e32 v8, 1, v4
	v_cndmask_b32_e32 v7, v4, v8, vcc_lo
	v_mov_b32_e32 v8, v3
.LBB0_6:                                ;   in Loop: Header=BB0_2 Depth=1
	s_or_b32 exec_lo, exec_lo, s0
	s_load_dwordx2 s[0:1], s[6:7], 0x0
	v_mul_lo_u32 v4, v8, s18
	v_mul_lo_u32 v11, v7, s19
	v_mad_u64_u32 v[9:10], null, v7, s18, 0
	s_add_u32 s16, s16, 1
	s_addc_u32 s17, s17, 0
	s_add_u32 s6, s6, 8
	s_addc_u32 s7, s7, 0
	;; [unrolled: 2-line block ×3, first 2 shown]
	v_add3_u32 v4, v10, v11, v4
	v_sub_co_u32 v5, vcc_lo, v5, v9
	v_sub_co_ci_u32_e32 v4, vcc_lo, v6, v4, vcc_lo
	s_waitcnt lgkmcnt(0)
	v_mul_lo_u32 v6, s1, v5
	v_mul_lo_u32 v4, s0, v4
	v_mad_u64_u32 v[1:2], null, s0, v5, v[1:2]
	v_cmp_ge_u64_e64 s0, s[16:17], s[10:11]
	s_and_b32 vcc_lo, exec_lo, s0
	v_add3_u32 v2, v6, v2, v4
	s_cbranch_vccnz .LBB0_9
; %bb.7:                                ;   in Loop: Header=BB0_2 Depth=1
	v_mov_b32_e32 v5, v7
	v_mov_b32_e32 v6, v8
	s_branch .LBB0_2
.LBB0_8:
	v_mov_b32_e32 v8, v6
	v_mov_b32_e32 v7, v5
.LBB0_9:
	s_lshl_b64 s[0:1], s[10:11], 3
	v_mul_hi_u32 v5, 0x1e573ad, v0
	s_add_u32 s0, s12, s0
	s_addc_u32 s1, s13, s1
                                        ; implicit-def: $vgpr10_vgpr11
                                        ; implicit-def: $vgpr14_vgpr15
                                        ; implicit-def: $vgpr18_vgpr19
                                        ; implicit-def: $vgpr38_vgpr39
                                        ; implicit-def: $vgpr26_vgpr27
                                        ; implicit-def: $vgpr34_vgpr35
                                        ; implicit-def: $vgpr30_vgpr31
                                        ; implicit-def: $vgpr22_vgpr23
                                        ; implicit-def: $vgpr42_vgpr43
                                        ; implicit-def: $vgpr46_vgpr47
                                        ; implicit-def: $vgpr58_vgpr59
                                        ; implicit-def: $vgpr62_vgpr63
                                        ; implicit-def: $vgpr78_vgpr79
                                        ; implicit-def: $vgpr66_vgpr67
                                        ; implicit-def: $vgpr82_vgpr83
                                        ; implicit-def: $vgpr70_vgpr71
                                        ; implicit-def: $vgpr86_vgpr87
                                        ; implicit-def: $vgpr74_vgpr75
                                        ; implicit-def: $vgpr50_vgpr51
                                        ; implicit-def: $vgpr54_vgpr55
                                        ; implicit-def: $vgpr90_vgpr91
                                        ; implicit-def: $vgpr94_vgpr95
                                        ; implicit-def: $vgpr98_vgpr99
                                        ; implicit-def: $vgpr102_vgpr103
                                        ; implicit-def: $vgpr110_vgpr111
                                        ; implicit-def: $vgpr118_vgpr119
                                        ; implicit-def: $vgpr114_vgpr115
                                        ; implicit-def: $vgpr106_vgpr107
	s_load_dwordx2 s[0:1], s[0:1], 0x0
	s_load_dwordx2 s[4:5], s[4:5], 0x20
	s_waitcnt lgkmcnt(0)
	v_mul_lo_u32 v3, s0, v8
	v_mul_lo_u32 v4, s1, v7
	v_mad_u64_u32 v[1:2], null, s0, v7, v[1:2]
	v_cmp_gt_u64_e32 vcc_lo, s[4:5], v[7:8]
                                        ; implicit-def: $vgpr6_vgpr7
	v_add3_u32 v2, v4, v2, v3
	v_mul_u32_u24_e32 v3, 0x87, v5
	v_lshlrev_b64 v[128:129], 4, v[1:2]
	v_sub_nc_u32_e32 v130, v0, v3
                                        ; implicit-def: $vgpr2_vgpr3
	s_and_saveexec_b32 s1, vcc_lo
	s_cbranch_execz .LBB0_11
; %bb.10:
	v_mov_b32_e32 v131, 0
	v_add_co_u32 v2, s0, s2, v128
	v_add_co_ci_u32_e64 v3, s0, s3, v129, s0
	v_lshlrev_b64 v[0:1], 4, v[130:131]
	v_add_co_u32 v0, s0, v2, v0
	v_add_co_ci_u32_e64 v1, s0, v3, v1, s0
	v_add_co_u32 v2, s0, 0x1800, v0
	v_add_co_ci_u32_e64 v3, s0, 0, v1, s0
	v_add_co_u32 v4, s0, 0x3000, v0
	v_add_co_ci_u32_e64 v5, s0, 0, v1, s0
	v_add_co_u32 v6, s0, 0x4800, v0
	v_add_co_ci_u32_e64 v7, s0, 0, v1, s0
	v_add_co_u32 v8, s0, 0x6000, v0
	v_add_co_ci_u32_e64 v9, s0, 0, v1, s0
	v_add_co_u32 v10, s0, 0x7800, v0
	v_add_co_ci_u32_e64 v11, s0, 0, v1, s0
	v_add_co_u32 v12, s0, 0x9000, v0
	v_add_co_ci_u32_e64 v13, s0, 0, v1, s0
	v_add_co_u32 v14, s0, 0xb000, v0
	v_add_co_ci_u32_e64 v15, s0, 0, v1, s0
	v_add_co_u32 v16, s0, 0xc800, v0
	v_add_co_ci_u32_e64 v17, s0, 0, v1, s0
	v_add_co_u32 v18, s0, 0xe000, v0
	v_add_co_ci_u32_e64 v19, s0, 0, v1, s0
	v_add_co_u32 v20, s0, 0x800, v0
	v_add_co_ci_u32_e64 v21, s0, 0, v1, s0
	v_add_co_u32 v22, s0, 0x2000, v0
	v_add_co_ci_u32_e64 v23, s0, 0, v1, s0
	v_add_co_u32 v24, s0, 0x3800, v0
	v_add_co_ci_u32_e64 v25, s0, 0, v1, s0
	v_add_co_u32 v26, s0, 0x5000, v0
	v_add_co_ci_u32_e64 v27, s0, 0, v1, s0
	v_add_co_u32 v28, s0, 0x6800, v0
	v_add_co_ci_u32_e64 v29, s0, 0, v1, s0
	v_add_co_u32 v30, s0, 0x8000, v0
	v_add_co_ci_u32_e64 v31, s0, 0, v1, s0
	v_add_co_u32 v32, s0, 0xa000, v0
	v_add_co_ci_u32_e64 v33, s0, 0, v1, s0
	v_add_co_u32 v34, s0, 0xb800, v0
	v_add_co_ci_u32_e64 v35, s0, 0, v1, s0
	v_add_co_u32 v36, s0, 0xd000, v0
	v_add_co_ci_u32_e64 v37, s0, 0, v1, s0
	v_add_co_u32 v38, s0, 0xe800, v0
	v_add_co_ci_u32_e64 v39, s0, 0, v1, s0
	v_add_co_u32 v120, s0, 0x1000, v0
	v_add_co_ci_u32_e64 v121, s0, 0, v1, s0
	v_add_co_u32 v122, s0, 0x2800, v0
	v_add_co_ci_u32_e64 v123, s0, 0, v1, s0
	v_add_co_u32 v124, s0, 0x4000, v0
	v_add_co_ci_u32_e64 v125, s0, 0, v1, s0
	v_add_co_u32 v126, s0, 0x5800, v0
	v_add_co_ci_u32_e64 v127, s0, 0, v1, s0
	v_add_co_u32 v131, s0, 0x7000, v0
	v_add_co_ci_u32_e64 v132, s0, 0, v1, s0
	v_add_co_u32 v133, s0, 0x8800, v0
	v_add_co_ci_u32_e64 v134, s0, 0, v1, s0
	v_add_co_u32 v135, s0, 0xa800, v0
	v_add_co_ci_u32_e64 v136, s0, 0, v1, s0
	v_add_co_u32 v137, s0, 0xc000, v0
	v_add_co_ci_u32_e64 v138, s0, 0, v1, s0
	v_add_co_u32 v139, s0, 0xd800, v0
	v_add_co_ci_u32_e64 v140, s0, 0, v1, s0
	v_add_co_u32 v141, s0, 0xf000, v0
	v_add_co_ci_u32_e64 v142, s0, 0, v1, s0
	s_clause 0x1d
	global_load_dwordx4 v[104:107], v[0:1], off
	global_load_dwordx4 v[112:115], v[2:3], off offset:336
	global_load_dwordx4 v[116:119], v[4:5], off offset:672
	;; [unrolled: 1-line block ×29, first 2 shown]
.LBB0_11:
	s_or_b32 exec_lo, exec_lo, s1
	s_waitcnt vmcnt(22)
	v_add_f64 v[120:121], v[88:89], v[96:97]
	s_waitcnt vmcnt(20)
	v_add_f64 v[122:123], v[48:49], v[108:109]
	v_add_f64 v[145:146], v[90:91], v[98:99]
	;; [unrolled: 1-line block ×3, first 2 shown]
	v_add_f64 v[149:150], v[110:111], -v[50:51]
	v_add_f64 v[151:152], v[98:99], -v[90:91]
	s_mov_b32 s0, 0x134454ff
	s_mov_b32 s1, 0x3fee6f0e
	;; [unrolled: 1-line block ×4, first 2 shown]
	v_add_f64 v[124:125], v[92:93], v[100:101]
	v_add_f64 v[126:127], v[52:53], v[116:117]
	v_add_f64 v[163:164], v[108:109], -v[96:97]
	v_add_f64 v[165:166], v[96:97], -v[108:109]
	;; [unrolled: 1-line block ×5, first 2 shown]
	s_mov_b32 s6, 0x4755a5e
	s_mov_b32 s7, 0x3fe2cf23
	;; [unrolled: 1-line block ×4, first 2 shown]
	v_add_f64 v[131:132], v[94:95], v[102:103]
	v_fma_f64 v[120:121], v[120:121], -0.5, v[112:113]
	v_fma_f64 v[122:123], v[122:123], -0.5, v[112:113]
	v_add_f64 v[112:113], v[108:109], v[112:113]
	v_add_f64 v[108:109], v[108:109], -v[48:49]
	v_fma_f64 v[145:146], v[145:146], -0.5, v[114:115]
	v_fma_f64 v[147:148], v[147:148], -0.5, v[114:115]
	v_add_f64 v[133:134], v[54:55], v[118:119]
	v_add_f64 v[135:136], v[116:117], v[104:105]
	;; [unrolled: 1-line block ×3, first 2 shown]
	v_add_f64 v[139:140], v[118:119], -v[54:55]
	v_add_f64 v[155:156], v[102:103], -v[94:95]
	v_add_f64 v[114:115], v[110:111], v[114:115]
	v_add_f64 v[177:178], v[110:111], -v[98:99]
	v_add_f64 v[110:111], v[98:99], -v[110:111]
	;; [unrolled: 1-line block ×4, first 2 shown]
	v_fma_f64 v[124:125], v[124:125], -0.5, v[104:105]
	v_fma_f64 v[104:105], v[126:127], -0.5, v[104:105]
	v_add_f64 v[126:127], v[169:170], v[163:164]
	v_add_f64 v[163:164], v[171:172], v[165:166]
	s_mov_b32 s12, 0x372fe950
	s_mov_b32 s13, 0x3fd3c6ef
	v_fma_f64 v[173:174], v[149:150], s[0:1], v[120:121]
	v_fma_f64 v[175:176], v[151:152], s[4:5], v[122:123]
	;; [unrolled: 1-line block ×8, first 2 shown]
	v_add_f64 v[141:142], v[116:117], -v[100:101]
	v_add_f64 v[143:144], v[100:101], -v[116:117]
	;; [unrolled: 1-line block ×8, first 2 shown]
	v_fma_f64 v[131:132], v[131:132], -0.5, v[106:107]
	v_add_f64 v[100:101], v[100:101], v[135:136]
	v_add_f64 v[96:97], v[96:97], v[112:113]
	v_fma_f64 v[106:107], v[133:134], -0.5, v[106:107]
	v_add_f64 v[112:113], v[181:182], v[177:178]
	v_add_f64 v[110:111], v[183:184], v[110:111]
	v_fma_f64 v[171:172], v[151:152], s[6:7], v[173:174]
	v_fma_f64 v[173:174], v[149:150], s[6:7], v[175:176]
	;; [unrolled: 1-line block ×12, first 2 shown]
	v_add_f64 v[102:103], v[102:103], v[137:138]
	s_mov_b32 s14, 0x9b97f4a8
	s_mov_b32 s15, 0x3fe9e377
	v_add_f64 v[179:180], v[54:55], -v[94:95]
	v_add_f64 v[185:186], v[94:95], -v[54:55]
	s_waitcnt vmcnt(12)
	v_add_f64 v[149:150], v[56:57], v[76:77]
	v_add_f64 v[98:99], v[98:99], v[114:115]
	;; [unrolled: 1-line block ×5, first 2 shown]
	v_fma_f64 v[165:166], v[126:127], s[12:13], v[171:172]
	v_fma_f64 v[169:170], v[163:164], s[12:13], v[173:174]
	;; [unrolled: 1-line block ×4, first 2 shown]
	v_add_f64 v[88:89], v[88:89], v[96:97]
	v_fma_f64 v[96:97], v[116:117], s[4:5], v[131:132]
	v_fma_f64 v[100:101], v[116:117], s[0:1], v[131:132]
	;; [unrolled: 1-line block ×12, first 2 shown]
	v_add_f64 v[94:95], v[94:95], v[102:103]
	v_add_f64 v[151:152], v[58:59], v[78:79]
	s_waitcnt vmcnt(10)
	v_add_f64 v[155:156], v[40:41], v[80:81]
	v_add_f64 v[153:154], v[179:180], v[153:154]
	v_add_f64 v[118:119], v[185:186], v[118:119]
	v_mul_f64 v[141:142], v[165:166], s[14:15]
	v_mul_f64 v[145:146], v[169:170], s[12:13]
	;; [unrolled: 1-line block ×4, first 2 shown]
	v_add_f64 v[90:91], v[90:91], v[98:99]
	v_add_f64 v[52:53], v[52:53], v[92:93]
	;; [unrolled: 1-line block ×3, first 2 shown]
	v_fma_f64 v[88:89], v[157:158], s[10:11], v[96:97]
	v_fma_f64 v[92:93], v[157:158], s[6:7], v[100:101]
	;; [unrolled: 1-line block ×5, first 2 shown]
	v_mul_f64 v[102:103], v[165:166], s[10:11]
	v_fma_f64 v[133:134], v[137:138], s[12:13], v[135:136]
	v_fma_f64 v[137:138], v[137:138], s[12:13], v[104:105]
	v_fma_f64 v[149:150], v[149:150], -0.5, v[84:85]
	v_fma_f64 v[116:117], v[116:117], s[6:7], v[106:107]
	v_add_f64 v[157:158], v[54:55], v[94:95]
	v_mul_f64 v[54:55], v[112:113], s[14:15]
	v_add_f64 v[126:127], v[78:79], -v[58:59]
	v_mul_f64 v[124:125], v[169:170], s[4:5]
	v_fma_f64 v[155:156], v[155:156], -0.5, v[84:85]
	v_fma_f64 v[131:132], v[139:140], s[6:7], v[141:142]
	v_fma_f64 v[135:136], v[143:144], s[0:1], v[145:146]
	v_fma_f64 v[110:111], v[108:109], s[0:1], -v[110:111]
	v_fma_f64 v[141:142], v[112:113], s[6:7], -v[147:148]
	v_add_f64 v[145:146], v[82:83], -v[42:43]
	v_add_f64 v[147:148], v[42:43], v[82:83]
	v_mul_f64 v[108:109], v[108:109], s[12:13]
	v_add_f64 v[112:113], v[50:51], v[90:91]
	v_add_f64 v[100:101], v[48:49], v[52:53]
	v_add_f64 v[90:91], v[52:53], -v[48:49]
	v_fma_f64 v[48:49], v[153:154], s[12:13], v[88:89]
	v_fma_f64 v[153:154], v[153:154], s[12:13], v[92:93]
	;; [unrolled: 1-line block ×4, first 2 shown]
	v_add_f64 v[139:140], v[76:77], -v[56:57]
	v_add_f64 v[161:162], v[70:71], v[74:75]
	v_add_f64 v[165:166], v[70:71], -v[46:47]
	v_add_f64 v[167:168], v[42:43], -v[58:59]
	;; [unrolled: 1-line block ×4, first 2 shown]
	v_fma_f64 v[124:125], v[143:144], s[12:13], v[124:125]
	v_add_f64 v[173:174], v[62:63], v[66:67]
	v_add_f64 v[102:103], v[98:99], v[131:132]
	v_add_f64 v[96:97], v[98:99], -v[131:132]
	v_add_f64 v[98:99], v[133:134], -v[135:136]
	v_add_f64 v[104:105], v[133:134], v[135:136]
	v_add_f64 v[106:107], v[137:138], v[110:111]
	;; [unrolled: 1-line block ×3, first 2 shown]
	v_add_f64 v[92:93], v[137:138], -v[110:111]
	v_add_f64 v[94:95], v[114:115], -v[141:142]
	v_fma_f64 v[110:111], v[118:119], s[12:13], v[116:117]
	v_add_f64 v[114:115], v[60:61], v[64:65]
	v_add_f64 v[116:117], v[44:45], v[68:69]
	v_fma_f64 v[118:119], v[120:121], s[10:11], -v[54:55]
	v_add_f64 v[120:121], v[80:81], -v[76:77]
	v_add_f64 v[131:132], v[80:81], -v[40:41]
	;; [unrolled: 1-line block ×3, first 2 shown]
	v_fma_f64 v[135:136], v[151:152], -0.5, v[86:87]
	v_fma_f64 v[137:138], v[145:146], s[0:1], v[149:150]
	v_fma_f64 v[108:109], v[122:123], s[4:5], -v[108:109]
	v_add_f64 v[122:123], v[76:77], -v[80:81]
	v_add_f64 v[141:142], v[56:57], -v[40:41]
	v_fma_f64 v[143:144], v[147:148], -0.5, v[86:87]
	v_fma_f64 v[147:148], v[126:127], s[4:5], v[155:156]
	v_add_f64 v[151:152], v[68:69], v[72:73]
	v_fma_f64 v[155:156], v[126:127], s[0:1], v[155:156]
	v_add_f64 v[80:81], v[80:81], v[84:85]
	v_add_f64 v[84:85], v[82:83], -v[78:79]
	v_add_f64 v[171:172], v[64:65], -v[68:69]
	v_add_f64 v[175:176], v[46:47], v[70:71]
	v_add_f64 v[52:53], v[112:113], v[157:158]
	;; [unrolled: 1-line block ×3, first 2 shown]
	v_add_f64 v[48:49], v[48:49], -v[50:51]
	v_fma_f64 v[114:115], v[114:115], -0.5, v[72:73]
	v_fma_f64 v[72:73], v[116:117], -0.5, v[72:73]
	v_fma_f64 v[116:117], v[145:146], s[4:5], v[149:150]
	v_add_f64 v[149:150], v[78:79], -v[82:83]
	v_add_f64 v[82:83], v[82:83], v[86:87]
	v_add_f64 v[120:121], v[133:134], v[120:121]
	v_fma_f64 v[133:134], v[131:132], s[4:5], v[135:136]
	v_fma_f64 v[137:138], v[126:127], s[6:7], v[137:138]
	v_add_f64 v[86:87], v[66:67], v[161:162]
	v_add_f64 v[161:162], v[68:69], -v[64:65]
	v_add_f64 v[122:123], v[141:142], v[122:123]
	v_fma_f64 v[141:142], v[139:140], s[0:1], v[143:144]
	v_fma_f64 v[147:148], v[145:146], s[6:7], v[147:148]
	v_add_f64 v[151:152], v[64:65], v[151:152]
	v_fma_f64 v[143:144], v[139:140], s[4:5], v[143:144]
	v_fma_f64 v[145:146], v[145:146], s[10:11], v[155:156]
	;; [unrolled: 1-line block ×3, first 2 shown]
	v_add_f64 v[76:77], v[76:77], v[80:81]
	v_add_f64 v[84:85], v[167:168], v[84:85]
	v_add_f64 v[155:156], v[60:61], -v[44:45]
	v_add_f64 v[68:69], v[68:69], -v[44:45]
	;; [unrolled: 1-line block ×3, first 2 shown]
	v_fma_f64 v[80:81], v[165:166], s[0:1], v[114:115]
	v_fma_f64 v[167:168], v[163:164], s[4:5], v[72:73]
	;; [unrolled: 1-line block ×3, first 2 shown]
	v_add_f64 v[126:127], v[44:45], -v[60:61]
	v_add_f64 v[149:150], v[169:170], v[149:150]
	v_add_f64 v[169:170], v[64:65], -v[60:61]
	v_fma_f64 v[133:134], v[139:140], s[10:11], v[133:134]
	v_fma_f64 v[137:138], v[120:121], s[12:13], v[137:138]
	v_add_f64 v[64:65], v[78:79], v[82:83]
	v_fma_f64 v[82:83], v[165:166], s[4:5], v[114:115]
	v_fma_f64 v[72:73], v[163:164], s[0:1], v[72:73]
	;; [unrolled: 1-line block ×4, first 2 shown]
	v_add_f64 v[60:61], v[60:61], v[151:152]
	v_fma_f64 v[114:115], v[131:132], s[6:7], v[143:144]
	v_fma_f64 v[122:123], v[122:123], s[12:13], v[145:146]
	;; [unrolled: 1-line block ×3, first 2 shown]
	v_add_f64 v[56:57], v[56:57], v[76:77]
	v_add_f64 v[78:79], v[70:71], -v[66:67]
	v_add_f64 v[135:136], v[155:156], v[171:172]
	v_add_f64 v[86:87], v[62:63], v[86:87]
	v_add_f64 v[145:146], v[46:47], -v[62:63]
	v_fma_f64 v[80:81], v[163:164], s[6:7], v[80:81]
	v_fma_f64 v[139:140], v[165:166], s[6:7], v[167:168]
	;; [unrolled: 1-line block ×3, first 2 shown]
	v_fma_f64 v[120:121], v[173:174], -0.5, v[74:75]
	v_add_f64 v[76:77], v[126:127], v[161:162]
	v_fma_f64 v[74:75], v[175:176], -0.5, v[74:75]
	v_fma_f64 v[126:127], v[84:85], s[12:13], v[133:134]
	v_mul_f64 v[133:134], v[137:138], s[14:15]
	v_add_f64 v[155:156], v[58:59], v[64:65]
	v_fma_f64 v[82:83], v[163:164], s[10:11], v[82:83]
	v_fma_f64 v[72:73], v[165:166], s[10:11], v[72:73]
	;; [unrolled: 1-line block ×3, first 2 shown]
	v_mul_f64 v[143:144], v[147:148], s[12:13]
	v_add_f64 v[161:162], v[44:45], v[60:61]
	v_fma_f64 v[114:115], v[149:150], s[12:13], v[114:115]
	v_mul_f64 v[149:150], v[122:123], s[12:13]
	v_fma_f64 v[84:85], v[84:85], s[12:13], v[131:132]
	v_add_f64 v[70:71], v[66:67], -v[70:71]
	v_add_f64 v[151:152], v[62:63], -v[46:47]
	v_add_f64 v[163:164], v[40:41], v[56:57]
	v_add_f64 v[60:61], v[159:160], v[124:125]
	;; [unrolled: 1-line block ×3, first 2 shown]
	v_add_f64 v[66:67], v[157:158], -v[112:113]
	v_fma_f64 v[124:125], v[135:136], s[12:13], v[139:140]
	v_mul_f64 v[131:132], v[116:117], s[14:15]
	v_fma_f64 v[44:45], v[68:69], s[4:5], v[120:121]
	v_fma_f64 v[80:81], v[76:77], s[12:13], v[80:81]
	;; [unrolled: 1-line block ×6, first 2 shown]
	v_add_f64 v[64:65], v[153:154], v[118:119]
	v_add_f64 v[56:57], v[110:111], -v[108:109]
	v_add_f64 v[58:59], v[153:154], -v[118:119]
	v_fma_f64 v[139:140], v[141:142], s[0:1], v[143:144]
	v_add_f64 v[112:113], v[46:47], v[86:87]
	v_add_f64 v[118:119], v[42:43], v[155:156]
	v_fma_f64 v[86:87], v[135:136], s[12:13], v[72:73]
	v_fma_f64 v[108:109], v[114:115], s[0:1], -v[149:150]
	v_fma_f64 v[82:83], v[76:77], s[12:13], v[82:83]
	s_waitcnt vmcnt(2)
	v_add_f64 v[149:150], v[8:9], v[16:17]
	v_add_f64 v[143:144], v[151:152], v[70:71]
	;; [unrolled: 1-line block ×3, first 2 shown]
	v_mul_f64 v[114:115], v[114:115], s[12:13]
	s_waitcnt vmcnt(0)
	v_add_f64 v[155:156], v[24:25], -v[4:5]
	v_add_f64 v[157:158], v[4:5], -v[8:9]
	v_fma_f64 v[110:111], v[84:85], s[6:7], -v[131:132]
	v_add_f64 v[131:132], v[145:146], v[78:79]
	v_fma_f64 v[135:136], v[169:170], s[10:11], v[44:45]
	v_fma_f64 v[120:121], v[169:170], s[6:7], v[120:121]
	;; [unrolled: 1-line block ×3, first 2 shown]
	v_add_f64 v[42:43], v[80:81], v[133:134]
	v_add_f64 v[44:45], v[80:81], -v[133:134]
	v_add_f64 v[80:81], v[4:5], v[24:25]
	v_fma_f64 v[151:152], v[68:69], s[6:7], v[74:75]
	v_mul_f64 v[133:134], v[137:138], s[10:11]
	v_add_f64 v[46:47], v[124:125], -v[139:140]
	v_mul_f64 v[137:138], v[147:148], s[4:5]
	v_mul_f64 v[84:85], v[84:85], s[14:15]
	v_add_f64 v[68:69], v[124:125], v[139:140]
	v_add_f64 v[70:71], v[86:87], v[108:109]
	v_add_f64 v[76:77], v[86:87], -v[108:109]
	v_add_f64 v[108:109], v[26:27], -v[6:7]
	v_fma_f64 v[124:125], v[149:150], -0.5, v[28:29]
	v_add_f64 v[139:140], v[18:19], -v[10:11]
	v_add_f64 v[40:41], v[163:164], v[161:162]
	v_add_f64 v[147:148], v[32:33], v[20:21]
	v_add_f64 v[74:75], v[161:162], -v[163:164]
	v_add_f64 v[72:73], v[82:83], v[110:111]
	v_add_f64 v[78:79], v[82:83], -v[110:111]
	v_fma_f64 v[82:83], v[131:132], s[12:13], v[135:136]
	v_add_f64 v[110:111], v[6:7], v[26:27]
	v_add_f64 v[135:136], v[10:11], v[18:19]
	v_fma_f64 v[120:121], v[131:132], s[12:13], v[120:121]
	v_fma_f64 v[86:87], v[143:144], s[12:13], v[145:146]
	v_fma_f64 v[80:81], v[80:81], -0.5, v[28:29]
	v_fma_f64 v[131:132], v[143:144], s[12:13], v[151:152]
	v_fma_f64 v[126:127], v[126:127], s[14:15], v[133:134]
	v_add_f64 v[145:146], v[0:1], v[32:33]
	v_fma_f64 v[133:134], v[141:142], s[12:13], v[137:138]
	v_fma_f64 v[137:138], v[116:117], s[10:11], -v[84:85]
	v_add_f64 v[116:117], v[38:39], v[153:154]
	v_add_f64 v[84:85], v[12:13], v[36:37]
	v_add_f64 v[149:150], v[24:25], -v[16:17]
	v_add_f64 v[151:152], v[16:17], -v[24:25]
	;; [unrolled: 1-line block ×3, first 2 shown]
	v_fma_f64 v[159:160], v[108:109], s[0:1], v[124:125]
	v_fma_f64 v[124:125], v[108:109], s[4:5], v[124:125]
	v_add_f64 v[161:162], v[8:9], -v[4:5]
	v_add_f64 v[141:142], v[38:39], -v[14:15]
	v_add_f64 v[165:166], v[14:15], v[38:39]
	v_add_f64 v[167:168], v[34:35], -v[38:39]
	v_add_f64 v[38:39], v[38:39], -v[34:35]
	v_fma_f64 v[110:111], v[110:111], -0.5, v[30:31]
	v_fma_f64 v[135:136], v[135:136], -0.5, v[30:31]
	v_add_f64 v[169:170], v[34:35], -v[2:3]
	v_add_f64 v[34:35], v[2:3], v[34:35]
	v_fma_f64 v[163:164], v[139:140], s[4:5], v[80:81]
	v_fma_f64 v[80:81], v[139:140], s[0:1], v[80:81]
	v_add_f64 v[24:25], v[24:25], v[28:29]
	v_fma_f64 v[122:123], v[122:123], s[4:5], -v[114:115]
	v_add_f64 v[114:115], v[36:37], v[147:148]
	v_add_f64 v[28:29], v[26:27], -v[18:19]
	v_add_f64 v[173:174], v[6:7], -v[10:11]
	v_fma_f64 v[171:172], v[84:85], -0.5, v[20:21]
	v_fma_f64 v[20:21], v[145:146], -0.5, v[20:21]
	v_add_f64 v[145:146], v[18:19], -v[26:27]
	v_add_f64 v[175:176], v[10:11], -v[6:7]
	v_add_f64 v[149:150], v[157:158], v[149:150]
	v_fma_f64 v[159:160], v[139:140], s[6:7], v[159:160]
	v_fma_f64 v[124:125], v[139:140], s[10:11], v[124:125]
	v_add_f64 v[151:152], v[161:162], v[151:152]
	v_add_f64 v[143:144], v[32:33], -v[36:37]
	v_add_f64 v[147:148], v[36:37], -v[32:33]
	;; [unrolled: 1-line block ×3, first 2 shown]
	v_fma_f64 v[157:158], v[153:154], s[4:5], v[110:111]
	v_fma_f64 v[139:140], v[155:156], s[0:1], v[135:136]
	;; [unrolled: 1-line block ×6, first 2 shown]
	v_add_f64 v[110:111], v[82:83], v[126:127]
	v_add_f64 v[80:81], v[82:83], -v[126:127]
	v_add_f64 v[82:83], v[86:87], -v[133:134]
	v_add_f64 v[84:85], v[86:87], v[133:134]
	v_add_f64 v[26:27], v[26:27], v[30:31]
	v_fma_f64 v[86:87], v[165:166], -0.5, v[22:23]
	v_add_f64 v[16:17], v[16:17], v[24:25]
	v_fma_f64 v[22:23], v[34:35], -0.5, v[22:23]
	v_add_f64 v[32:33], v[32:33], -v[0:1]
	v_add_f64 v[30:31], v[12:13], v[114:115]
	v_add_f64 v[114:115], v[14:15], v[116:117]
	v_add_f64 v[24:25], v[0:1], -v[12:13]
	v_add_f64 v[34:35], v[175:176], v[145:146]
	v_fma_f64 v[126:127], v[169:170], s[0:1], v[171:172]
	v_add_f64 v[28:29], v[173:174], v[28:29]
	v_add_f64 v[12:13], v[12:13], -v[0:1]
	v_fma_f64 v[116:117], v[155:156], s[6:7], v[157:158]
	v_fma_f64 v[133:134], v[153:154], s[6:7], v[139:140]
	;; [unrolled: 1-line block ×11, first 2 shown]
	v_add_f64 v[18:19], v[18:19], v[26:27]
	v_add_f64 v[26:27], v[2:3], -v[14:15]
	v_add_f64 v[14:15], v[14:15], -v[2:3]
	v_add_f64 v[8:9], v[8:9], v[16:17]
	v_fma_f64 v[16:17], v[36:37], s[0:1], v[22:23]
	v_fma_f64 v[149:150], v[32:33], s[4:5], v[86:87]
	v_add_f64 v[24:25], v[24:25], v[143:144]
	v_fma_f64 v[22:23], v[36:37], s[4:5], v[22:23]
	v_fma_f64 v[126:127], v[141:142], s[6:7], v[126:127]
	;; [unrolled: 1-line block ×3, first 2 shown]
	v_add_f64 v[12:13], v[12:13], v[147:148]
	v_fma_f64 v[116:117], v[34:35], s[12:13], v[116:117]
	v_fma_f64 v[133:134], v[28:29], s[12:13], v[133:134]
	;; [unrolled: 1-line block ×5, first 2 shown]
	v_mul_f64 v[147:148], v[155:156], s[12:13]
	v_fma_f64 v[20:21], v[169:170], s[10:11], v[20:21]
	v_mul_f64 v[153:154], v[151:152], s[12:13]
	v_fma_f64 v[141:142], v[141:142], s[10:11], v[157:158]
	v_mul_f64 v[157:158], v[124:125], s[14:15]
	v_mul_f64 v[135:136], v[145:146], s[14:15]
	;; [unrolled: 1-line block ×3, first 2 shown]
	v_add_f64 v[10:11], v[10:11], v[18:19]
	v_add_f64 v[14:15], v[14:15], v[38:39]
	v_mul_f64 v[38:39], v[155:156], s[4:5]
	v_fma_f64 v[16:17], v[32:33], s[10:11], v[16:17]
	v_add_f64 v[18:19], v[26:27], v[167:168]
	v_fma_f64 v[26:27], v[36:37], s[10:11], v[149:150]
	v_fma_f64 v[22:23], v[32:33], s[6:7], v[22:23]
	v_add_f64 v[149:150], v[4:5], v[8:9]
	v_fma_f64 v[36:37], v[36:37], s[6:7], v[143:144]
	v_fma_f64 v[4:5], v[24:25], s[12:13], v[126:127]
	v_mul_f64 v[32:33], v[116:117], s[12:13]
	v_mul_f64 v[143:144], v[133:134], s[14:15]
	v_fma_f64 v[126:127], v[12:13], s[12:13], v[139:140]
	v_add_f64 v[30:31], v[0:1], v[30:31]
	v_add_f64 v[86:87], v[131:132], v[122:123]
	v_and_b32_e32 v178, 0xff, v130
	v_fma_f64 v[20:21], v[12:13], s[12:13], v[20:21]
	v_fma_f64 v[139:140], v[116:117], s[0:1], -v[153:154]
	v_fma_f64 v[24:25], v[24:25], s[12:13], v[141:142]
	v_fma_f64 v[133:134], v[133:134], s[6:7], -v[157:158]
	v_fma_f64 v[8:9], v[28:29], s[6:7], v[135:136]
	v_fma_f64 v[135:136], v[34:35], s[0:1], v[147:148]
	;; [unrolled: 1-line block ×3, first 2 shown]
	v_add_f64 v[141:142], v[2:3], v[114:115]
	v_fma_f64 v[34:35], v[34:35], s[12:13], v[38:39]
	v_fma_f64 v[145:146], v[14:15], s[12:13], v[16:17]
	v_add_f64 v[147:148], v[6:7], v[10:11]
	v_fma_f64 v[26:27], v[18:19], s[12:13], v[26:27]
	v_fma_f64 v[22:23], v[14:15], s[12:13], v[22:23]
	v_add_f64 v[116:117], v[131:132], -v[122:123]
	v_fma_f64 v[36:37], v[18:19], s[12:13], v[36:37]
	v_add_f64 v[108:109], v[118:119], v[112:113]
	v_fma_f64 v[32:33], v[151:152], s[4:5], -v[32:33]
	v_fma_f64 v[38:39], v[124:125], s[10:11], -v[143:144]
	v_add_f64 v[114:115], v[112:113], -v[118:119]
	v_add_f64 v[0:1], v[149:150], v[30:31]
	v_add_f64 v[14:15], v[30:31], -v[149:150]
	v_add_f64 v[112:113], v[120:121], v[137:138]
	v_add_f64 v[118:119], v[120:121], -v[137:138]
	v_add_f64 v[16:17], v[20:21], -v[139:140]
	v_add_f64 v[10:11], v[20:21], v[139:140]
	v_add_f64 v[18:19], v[24:25], -v[133:134]
	v_mul_u32_u24_e32 v20, 10, v130
	v_add_f64 v[2:3], v[4:5], v[8:9]
	v_add_f64 v[4:5], v[4:5], -v[8:9]
	v_add_f64 v[6:7], v[126:127], -v[135:136]
	v_add_f64 v[8:9], v[126:127], v[135:136]
	v_add_f64 v[12:13], v[24:25], v[133:134]
	v_add_f64 v[126:127], v[145:146], -v[34:35]
	v_add_f64 v[133:134], v[145:146], v[34:35]
	v_lshl_add_u32 v145, v20, 3, 0
	v_add_f64 v[120:121], v[147:148], v[141:142]
	v_add_f64 v[122:123], v[26:27], v[28:29]
	v_add_f64 v[124:125], v[26:27], -v[28:29]
	v_add_f64 v[135:136], v[22:23], v[32:33]
	v_mad_i32_i24 v159, 0xffffffb8, v130, v145
	v_add_f64 v[139:140], v[141:142], -v[147:148]
	v_add_f64 v[137:138], v[36:37], v[38:39]
	v_add_f64 v[141:142], v[22:23], -v[32:33]
	v_add_f64 v[143:144], v[36:37], -v[38:39]
	v_add_nc_u32_e32 v164, 0x800, v159
	v_add_nc_u32_e32 v168, 0x1000, v159
	;; [unrolled: 1-line block ×14, first 2 shown]
	ds_write_b128 v145, v[100:103]
	ds_write_b128 v145, v[104:107] offset:16
	ds_write_b128 v145, v[88:91] offset:32
	;; [unrolled: 1-line block ×14, first 2 shown]
	s_waitcnt lgkmcnt(0)
	s_barrier
	buffer_gl0_inv
	ds_read2_b64 v[12:15], v159 offset1:135
	ds_read2_b64 v[76:79], v131 offset0:42 offset1:177
	ds_read2_b64 v[72:75], v162 offset0:84 offset1:219
	;; [unrolled: 1-line block ×14, first 2 shown]
	s_waitcnt lgkmcnt(0)
	s_barrier
	buffer_gl0_inv
	ds_write_b128 v145, v[52:55]
	ds_write_b128 v145, v[60:63] offset:16
	ds_write_b128 v145, v[64:67] offset:32
	v_add_nc_u32_e32 v175, 0x87, v130
	v_mov_b32_e32 v60, 0xcccd
	v_mul_lo_u16 v52, 0xcd, v178
	ds_write_b128 v145, v[48:51] offset:48
	ds_write_b128 v145, v[56:59] offset:64
	v_mov_b32_e32 v61, 6
	v_add_nc_u32_e32 v176, 0x10e, v130
	v_mul_u32_u24_sdwa v48, v175, v60 dst_sel:DWORD dst_unused:UNUSED_PAD src0_sel:WORD_0 src1_sel:DWORD
	v_lshrrev_b16 v189, 11, v52
	v_add_nc_u32_e32 v172, 0x195, v130
	ds_write_b128 v145, v[108:111] offset:10800
	ds_write_b128 v145, v[84:87] offset:10816
	;; [unrolled: 1-line block ×3, first 2 shown]
	v_lshrrev_b32_e32 v185, 19, v48
	v_mul_lo_u16 v49, v189, 10
	ds_write_b128 v145, v[80:83] offset:10848
	ds_write_b128 v145, v[116:119] offset:10864
	;; [unrolled: 1-line block ×7, first 2 shown]
	v_mul_lo_u16 v48, v185, 10
	v_sub_nc_u16 v187, v130, v49
	s_waitcnt lgkmcnt(0)
	s_barrier
	buffer_gl0_inv
	v_sub_nc_u16 v186, v175, v48
	v_lshlrev_b32_sdwa v48, v61, v187 dst_sel:DWORD dst_unused:UNUSED_PAD src0_sel:DWORD src1_sel:BYTE_0
	v_mul_u32_u24_sdwa v50, v176, v60 dst_sel:DWORD dst_unused:UNUSED_PAD src0_sel:WORD_0 src1_sel:DWORD
	v_mul_u32_u24_sdwa v51, v172, v60 dst_sel:DWORD dst_unused:UNUSED_PAD src0_sel:WORD_0 src1_sel:DWORD
	v_add_nc_u32_e32 v173, 0x21c, v130
	v_lshlrev_b32_sdwa v49, v61, v186 dst_sel:DWORD dst_unused:UNUSED_PAD src0_sel:DWORD src1_sel:WORD_0
	s_clause 0x6
	global_load_dwordx4 v[133:136], v48, s[8:9]
	global_load_dwordx4 v[137:140], v49, s[8:9]
	global_load_dwordx4 v[141:144], v48, s[8:9] offset:16
	global_load_dwordx4 v[145:148], v48, s[8:9] offset:32
	;; [unrolled: 1-line block ×5, first 2 shown]
	v_lshrrev_b32_e32 v188, 19, v50
	v_lshrrev_b32_e32 v179, 19, v51
	global_load_dwordx4 v[52:55], v49, s[8:9] offset:48
	v_add_nc_u32_e32 v174, 0x2a3, v130
	v_mul_u32_u24_sdwa v92, v173, v60 dst_sel:DWORD dst_unused:UNUSED_PAD src0_sel:WORD_0 src1_sel:DWORD
	v_mul_lo_u16 v50, v188, 10
	v_mul_lo_u16 v51, v179, 10
	v_mov_b32_e32 v177, 3
	v_mul_u32_u24_sdwa v60, v174, v60 dst_sel:DWORD dst_unused:UNUSED_PAD src0_sel:WORD_0 src1_sel:DWORD
	v_lshrrev_b32_e32 v181, 19, v92
	v_sub_nc_u16 v190, v176, v50
	v_sub_nc_u16 v180, v172, v51
	v_lshlrev_b32_sdwa v187, v177, v187 dst_sel:DWORD dst_unused:UNUSED_PAD src0_sel:DWORD src1_sel:BYTE_0
	v_lshrrev_b32_e32 v182, 19, v60
	v_mul_lo_u16 v60, v181, 10
	v_lshlrev_b32_sdwa v62, v61, v190 dst_sel:DWORD dst_unused:UNUSED_PAD src0_sel:DWORD src1_sel:WORD_0
	v_lshlrev_b32_sdwa v63, v61, v180 dst_sel:DWORD dst_unused:UNUSED_PAD src0_sel:DWORD src1_sel:WORD_0
	s_clause 0x7
	global_load_dwordx4 v[48:51], v62, s[8:9]
	global_load_dwordx4 v[56:59], v63, s[8:9]
	global_load_dwordx4 v[64:67], v62, s[8:9] offset:16
	global_load_dwordx4 v[80:83], v63, s[8:9] offset:16
	;; [unrolled: 1-line block ×6, first 2 shown]
	v_mul_lo_u16 v62, v182, 10
	v_sub_nc_u16 v184, v173, v60
	v_sub_nc_u16 v183, v174, v62
	v_lshlrev_b32_sdwa v60, v61, v184 dst_sel:DWORD dst_unused:UNUSED_PAD src0_sel:DWORD src1_sel:WORD_0
	v_lshlrev_b32_sdwa v61, v61, v183 dst_sel:DWORD dst_unused:UNUSED_PAD src0_sel:DWORD src1_sel:WORD_0
	s_clause 0x7
	global_load_dwordx4 v[104:107], v60, s[8:9]
	global_load_dwordx4 v[108:111], v61, s[8:9]
	global_load_dwordx4 v[112:115], v60, s[8:9] offset:16
	global_load_dwordx4 v[116:119], v61, s[8:9] offset:16
	;; [unrolled: 1-line block ×6, first 2 shown]
	ds_read2_b64 v[195:198], v131 offset0:42 offset1:177
	ds_read2_b64 v[199:202], v162 offset0:84 offset1:219
	;; [unrolled: 1-line block ×5, first 2 shown]
	s_waitcnt vmcnt(23) lgkmcnt(4)
	v_mul_f64 v[157:158], v[195:196], v[135:136]
	v_mul_f64 v[215:216], v[76:77], v[135:136]
	s_waitcnt vmcnt(21) lgkmcnt(3)
	v_mul_f64 v[221:222], v[199:200], v[143:144]
	v_mul_f64 v[143:144], v[72:73], v[143:144]
	;; [unrolled: 1-line block ×4, first 2 shown]
	s_waitcnt vmcnt(20) lgkmcnt(2)
	v_mul_f64 v[223:224], v[203:204], v[147:148]
	s_waitcnt vmcnt(18)
	v_mul_f64 v[225:226], v[201:202], v[151:152]
	v_mul_f64 v[147:148], v[68:69], v[147:148]
	;; [unrolled: 1-line block ×3, first 2 shown]
	s_waitcnt vmcnt(17)
	v_mul_f64 v[227:228], v[205:206], v[155:156]
	v_mul_f64 v[155:156], v[70:71], v[155:156]
	v_fma_f64 v[135:136], v[76:77], v[133:134], -v[157:158]
	v_fma_f64 v[131:132], v[195:196], v[133:134], v[215:216]
	v_fma_f64 v[133:134], v[72:73], v[141:142], -v[221:222]
	v_fma_f64 v[72:73], v[199:200], v[141:142], v[143:144]
	s_waitcnt vmcnt(16) lgkmcnt(1)
	v_mul_f64 v[143:144], v[209:210], v[54:55]
	v_mul_f64 v[157:158], v[46:47], v[54:55]
	ds_read2_b64 v[215:218], v166 offset0:98 offset1:233
	v_fma_f64 v[76:77], v[197:198], v[137:138], v[139:140]
	v_mul_f64 v[139:140], v[207:208], v[193:194]
	ds_read2_b64 v[195:198], v160 offset0:12 offset1:147
	v_mul_f64 v[141:142], v[44:45], v[193:194]
	v_fma_f64 v[54:55], v[74:75], v[149:150], -v[225:226]
	s_waitcnt vmcnt(15) lgkmcnt(2)
	v_mul_f64 v[193:194], v[211:212], v[50:51]
	v_fma_f64 v[74:75], v[203:204], v[145:146], v[147:148]
	s_waitcnt vmcnt(14)
	v_mul_f64 v[147:148], v[213:214], v[58:59]
	v_fma_f64 v[78:79], v[78:79], v[137:138], -v[219:220]
	v_fma_f64 v[137:138], v[68:69], v[145:146], -v[223:224]
	v_fma_f64 v[68:69], v[201:202], v[149:150], v[151:152]
	ds_read2_b64 v[199:202], v167 offset0:54 offset1:189
	v_mul_f64 v[151:152], v[40:41], v[50:51]
	v_fma_f64 v[50:51], v[70:71], v[153:154], -v[227:228]
	v_fma_f64 v[70:71], v[205:206], v[153:154], v[155:156]
	v_mul_f64 v[58:59], v[42:43], v[58:59]
	s_waitcnt vmcnt(13)
	v_mul_f64 v[153:154], v[36:37], v[66:67]
	s_waitcnt vmcnt(11)
	v_mul_f64 v[221:222], v[32:33], v[86:87]
	s_waitcnt lgkmcnt(2)
	v_mul_f64 v[205:206], v[217:218], v[82:83]
	v_mul_f64 v[82:83], v[38:39], v[82:83]
	v_fma_f64 v[46:47], v[46:47], v[52:53], -v[143:144]
	s_waitcnt vmcnt(10) lgkmcnt(1)
	v_mul_f64 v[223:224], v[197:198], v[90:91]
	v_fma_f64 v[149:150], v[209:210], v[52:53], v[157:158]
	v_mul_f64 v[52:53], v[34:35], v[90:91]
	v_mul_f64 v[203:204], v[215:216], v[66:67]
	v_fma_f64 v[66:67], v[44:45], v[191:192], -v[139:140]
	v_fma_f64 v[44:45], v[207:208], v[191:192], v[141:142]
	v_fma_f64 v[155:156], v[40:41], v[48:49], -v[193:194]
	ds_read2_b64 v[191:194], v161 offset0:70 offset1:205
	v_fma_f64 v[139:140], v[42:43], v[56:57], -v[147:148]
	s_waitcnt vmcnt(9) lgkmcnt(1)
	v_mul_f64 v[157:158], v[199:200], v[122:123]
	s_waitcnt vmcnt(8)
	v_mul_f64 v[209:210], v[201:202], v[102:103]
	ds_read2_b64 v[40:43], v170 offset0:112 offset1:247
	v_mul_f64 v[219:220], v[195:196], v[86:87]
	v_add_f64 v[207:208], v[133:134], v[137:138]
	v_fma_f64 v[145:146], v[211:212], v[48:49], v[151:152]
	v_mul_f64 v[48:49], v[28:29], v[122:123]
	v_fma_f64 v[147:148], v[215:216], v[64:65], v[153:154]
	v_fma_f64 v[86:87], v[213:214], v[56:57], v[58:59]
	v_fma_f64 v[122:123], v[195:196], v[84:85], v[221:222]
	v_fma_f64 v[141:142], v[38:39], v[80:81], -v[205:206]
	v_fma_f64 v[90:91], v[217:218], v[80:81], v[82:83]
	v_add_f64 v[205:206], v[135:136], -v[133:134]
	v_fma_f64 v[143:144], v[34:35], v[88:89], -v[223:224]
	v_mul_f64 v[34:35], v[30:31], v[102:103]
	v_fma_f64 v[82:83], v[197:198], v[88:89], v[52:53]
	v_fma_f64 v[151:152], v[36:37], v[64:65], -v[203:204]
	ds_read2_b64 v[36:39], v169 offset0:26 offset1:161
	s_waitcnt vmcnt(6) lgkmcnt(2)
	v_mul_f64 v[88:89], v[193:194], v[110:111]
	v_mul_f64 v[52:53], v[191:192], v[106:107]
	;; [unrolled: 1-line block ×3, first 2 shown]
	v_add_f64 v[58:59], v[131:132], -v[44:45]
	s_waitcnt vmcnt(5) lgkmcnt(1)
	v_mul_f64 v[102:103], v[40:41], v[114:115]
	v_fma_f64 v[157:158], v[28:29], v[120:121], -v[157:158]
	v_fma_f64 v[106:107], v[30:31], v[100:101], -v[209:210]
	ds_read2_b64 v[28:31], v171 offset0:68 offset1:203
	v_fma_f64 v[153:154], v[32:33], v[84:85], -v[219:220]
	v_add_f64 v[32:33], v[12:13], v[135:136]
	v_fma_f64 v[56:57], v[207:208], -0.5, v[12:13]
	v_fma_f64 v[80:81], v[199:200], v[120:121], v[48:49]
	v_mul_f64 v[48:49], v[26:27], v[110:111]
	v_mul_f64 v[120:121], v[20:21], v[114:115]
	v_add_f64 v[195:196], v[135:136], v[66:67]
	s_waitcnt vmcnt(4)
	v_mul_f64 v[197:198], v[42:43], v[118:119]
	v_mul_f64 v[199:200], v[22:23], v[118:119]
	v_add_f64 v[209:210], v[54:55], v[50:51]
	v_add_f64 v[207:208], v[66:67], -v[137:138]
	s_waitcnt vmcnt(3) lgkmcnt(1)
	v_mul_f64 v[203:204], v[36:37], v[126:127]
	v_mul_f64 v[126:127], v[16:17], v[126:127]
	s_waitcnt vmcnt(2)
	v_mul_f64 v[211:212], v[38:39], v[98:99]
	v_fma_f64 v[110:111], v[26:27], v[108:109], -v[88:89]
	v_add_f64 v[26:27], v[78:79], v[46:47]
	v_fma_f64 v[84:85], v[201:202], v[100:101], v[34:35]
	v_add_f64 v[201:202], v[72:73], -v[74:75]
	v_fma_f64 v[118:119], v[20:21], v[112:113], -v[102:103]
	s_waitcnt vmcnt(1) lgkmcnt(0)
	v_mul_f64 v[20:21], v[28:29], v[94:95]
	v_fma_f64 v[114:115], v[24:25], v[104:105], -v[52:53]
	v_fma_f64 v[100:101], v[191:192], v[104:105], v[64:65]
	v_mul_f64 v[24:25], v[18:19], v[98:99]
	v_add_f64 v[32:33], v[32:33], v[133:134]
	v_fma_f64 v[34:35], v[58:59], s[0:1], v[56:57]
	s_waitcnt vmcnt(0)
	v_mul_f64 v[52:53], v[10:11], v[62:63]
	v_fma_f64 v[98:99], v[193:194], v[108:109], v[48:49]
	v_fma_f64 v[104:105], v[40:41], v[112:113], v[120:121]
	v_fma_f64 v[12:13], v[195:196], -0.5, v[12:13]
	v_fma_f64 v[108:109], v[22:23], v[116:117], -v[197:198]
	v_fma_f64 v[102:103], v[42:43], v[116:117], v[199:200]
	v_mul_f64 v[22:23], v[8:9], v[94:95]
	v_add_f64 v[40:41], v[14:15], v[78:79]
	v_add_f64 v[42:43], v[76:77], -v[149:150]
	v_fma_f64 v[88:89], v[36:37], v[124:125], v[126:127]
	v_fma_f64 v[36:37], v[209:210], -0.5, v[14:15]
	v_fma_f64 v[112:113], v[18:19], v[96:97], -v[211:212]
	v_add_f64 v[18:19], v[151:152], v[153:154]
	v_fma_f64 v[14:15], v[26:27], -0.5, v[14:15]
	v_add_f64 v[26:27], v[68:69], -v[70:71]
	v_mov_b32_e32 v64, 0x190
	v_fma_f64 v[120:121], v[8:9], v[92:93], -v[20:21]
	v_fma_f64 v[8:9], v[58:59], s[4:5], v[56:57]
	v_fma_f64 v[94:95], v[16:17], v[124:125], -v[203:204]
	v_add_f64 v[16:17], v[205:206], v[207:208]
	v_add_f64 v[32:33], v[32:33], v[137:138]
	v_fma_f64 v[34:35], v[201:202], s[6:7], v[34:35]
	v_mul_f64 v[48:49], v[30:31], v[62:63]
	v_fma_f64 v[96:97], v[38:39], v[96:97], v[24:25]
	v_add_f64 v[24:25], v[133:134], -v[135:136]
	v_add_f64 v[38:39], v[137:138], -v[66:67]
	v_fma_f64 v[62:63], v[201:202], s[4:5], v[12:13]
	v_fma_f64 v[12:13], v[201:202], s[0:1], v[12:13]
	;; [unrolled: 1-line block ×3, first 2 shown]
	v_mul_u32_u24_sdwa v189, v189, v64 dst_sel:DWORD dst_unused:UNUSED_PAD src0_sel:WORD_0 src1_sel:DWORD
	v_add_f64 v[20:21], v[78:79], -v[54:55]
	v_add_f64 v[22:23], v[46:47], -v[50:51]
	v_add_f64 v[28:29], v[40:41], v[54:55]
	v_fma_f64 v[40:41], v[42:43], s[0:1], v[36:37]
	v_add_f64 v[56:57], v[4:5], v[155:156]
	v_fma_f64 v[18:19], v[18:19], -0.5, v[4:5]
	v_add_f64 v[64:65], v[145:146], -v[80:81]
	v_add_f64 v[126:127], v[54:55], -v[78:79]
	v_add_f64 v[191:192], v[50:51], -v[46:47]
	v_add_f64 v[193:194], v[155:156], v[157:158]
	v_fma_f64 v[195:196], v[26:27], s[4:5], v[14:15]
	v_fma_f64 v[14:15], v[26:27], s[0:1], v[14:15]
	;; [unrolled: 1-line block ×5, first 2 shown]
	v_add_f64 v[32:33], v[32:33], v[66:67]
	v_fma_f64 v[34:35], v[16:17], s[12:13], v[34:35]
	v_fma_f64 v[124:125], v[10:11], v[60:61], -v[48:49]
	v_add_f64 v[24:25], v[24:25], v[38:39]
	v_fma_f64 v[38:39], v[58:59], s[6:7], v[62:63]
	v_fma_f64 v[12:13], v[58:59], s[10:11], v[12:13]
	v_add_f64 v[48:49], v[157:158], -v[153:154]
	v_add_f64 v[199:200], v[147:148], -v[122:123]
	v_add_f64 v[20:21], v[20:21], v[22:23]
	v_add_f64 v[22:23], v[28:29], v[50:51]
	v_fma_f64 v[28:29], v[26:27], s[6:7], v[40:41]
	v_add_f64 v[40:41], v[155:156], -v[151:152]
	v_add_f64 v[52:53], v[56:57], v[151:152]
	v_fma_f64 v[197:198], v[64:65], s[0:1], v[18:19]
	v_add3_u32 v187, 0, v189, v187
	v_add_f64 v[126:127], v[126:127], v[191:192]
	v_fma_f64 v[4:5], v[193:194], -0.5, v[4:5]
	v_fma_f64 v[191:192], v[42:43], s[6:7], v[195:196]
	v_fma_f64 v[14:15], v[42:43], s[10:11], v[14:15]
	ds_read2_b64 v[8:11], v159 offset1:135
	v_fma_f64 v[16:17], v[16:17], s[12:13], v[30:31]
	v_add_f64 v[30:31], v[139:140], v[106:107]
	v_fma_f64 v[26:27], v[26:27], s[10:11], v[36:37]
	ds_read2_b64 v[60:63], v164 offset0:14 offset1:149
	ds_read2_b64 v[56:59], v168 offset0:28 offset1:163
	s_waitcnt lgkmcnt(0)
	s_barrier
	v_fma_f64 v[36:37], v[24:25], s[12:13], v[38:39]
	v_fma_f64 v[12:13], v[24:25], s[12:13], v[12:13]
	v_add_f64 v[24:25], v[141:142], v[143:144]
	buffer_gl0_inv
	ds_write2_b64 v187, v[32:33], v[34:35] offset1:10
	v_add_f64 v[22:23], v[22:23], v[46:47]
	v_fma_f64 v[28:29], v[20:21], s[12:13], v[28:29]
	v_add_f64 v[34:35], v[40:41], v[48:49]
	v_add_f64 v[32:33], v[52:53], v[153:154]
	v_fma_f64 v[38:39], v[199:200], s[6:7], v[197:198]
	v_add_f64 v[40:41], v[151:152], -v[155:156]
	v_add_f64 v[42:43], v[153:154], -v[157:158]
	v_fma_f64 v[48:49], v[199:200], s[4:5], v[4:5]
	v_fma_f64 v[52:53], v[126:127], s[12:13], v[191:192]
	;; [unrolled: 1-line block ×5, first 2 shown]
	ds_write_b64 v187, v[16:17] offset:320
	v_fma_f64 v[16:17], v[30:31], -0.5, v[6:7]
	v_add_f64 v[30:31], v[118:119], v[94:95]
	v_fma_f64 v[20:21], v[20:21], s[12:13], v[26:27]
	v_mul_u32_u24_e32 v126, 0x190, v185
	v_lshlrev_b32_sdwa v127, v177, v186 dst_sel:DWORD dst_unused:UNUSED_PAD src0_sel:DWORD src1_sel:WORD_0
	ds_write2_b64 v187, v[36:37], v[12:13] offset0:20 offset1:30
	v_fma_f64 v[12:13], v[24:25], -0.5, v[6:7]
	v_add_f64 v[24:25], v[86:87], -v[84:85]
	v_add_f64 v[26:27], v[90:91], -v[82:83]
	v_add3_u32 v185, 0, v126, v127
	v_mul_u32_u24_e32 v126, 0x190, v188
	v_add_f64 v[188:189], v[100:101], -v[92:93]
	v_add_f64 v[6:7], v[6:7], v[139:140]
	v_add_f64 v[192:193], v[118:119], -v[114:115]
	ds_write2_b64 v185, v[22:23], v[28:29] offset1:10
	v_add_f64 v[22:23], v[32:33], v[157:158]
	v_add_f64 v[28:29], v[114:115], v[120:121]
	v_fma_f64 v[32:33], v[34:35], s[12:13], v[38:39]
	v_add_f64 v[36:37], v[40:41], v[42:43]
	v_fma_f64 v[38:39], v[64:65], s[6:7], v[48:49]
	ds_write2_b64 v185, v[52:53], v[14:15] offset0:20 offset1:30
	ds_write_b64 v185, v[20:21] offset:320
	v_fma_f64 v[4:5], v[64:65], s[10:11], v[4:5]
	v_fma_f64 v[14:15], v[199:200], s[10:11], v[18:19]
	v_fma_f64 v[30:31], v[30:31], -0.5, v[0:1]
	v_add_f64 v[40:41], v[108:109], v[112:113]
	v_add_f64 v[42:43], v[110:111], v[124:125]
	v_lshlrev_b32_sdwa v48, v177, v190 dst_sel:DWORD dst_unused:UNUSED_PAD src0_sel:DWORD src1_sel:WORD_0
	v_add_f64 v[18:19], v[139:140], -v[141:142]
	v_add_f64 v[20:21], v[106:107], -v[143:144]
	;; [unrolled: 1-line block ×4, first 2 shown]
	v_add3_u32 v186, 0, v126, v48
	v_fma_f64 v[48:49], v[24:25], s[0:1], v[12:13]
	v_fma_f64 v[126:127], v[26:27], s[4:5], v[16:17]
	v_add_f64 v[190:191], v[104:105], -v[88:89]
	v_fma_f64 v[28:29], v[28:29], -0.5, v[0:1]
	v_fma_f64 v[16:17], v[26:27], s[0:1], v[16:17]
	v_fma_f64 v[12:13], v[24:25], s[4:5], v[12:13]
	ds_write2_b64 v186, v[22:23], v[32:33] offset1:10
	v_fma_f64 v[22:23], v[36:37], s[12:13], v[38:39]
	v_add_f64 v[0:1], v[0:1], v[114:115]
	v_add_f64 v[194:195], v[94:95], -v[120:121]
	v_add_f64 v[6:7], v[6:7], v[141:142]
	v_fma_f64 v[4:5], v[36:37], s[12:13], v[4:5]
	v_fma_f64 v[14:15], v[34:35], s[12:13], v[14:15]
	v_add_f64 v[34:35], v[114:115], -v[118:119]
	v_add_f64 v[36:37], v[120:121], -v[94:95]
	v_fma_f64 v[196:197], v[188:189], s[0:1], v[30:31]
	v_fma_f64 v[32:33], v[40:41], -0.5, v[2:3]
	v_fma_f64 v[38:39], v[42:43], -0.5, v[2:3]
	v_add_f64 v[40:41], v[98:99], -v[116:117]
	v_add_f64 v[2:3], v[2:3], v[110:111]
	v_add_f64 v[42:43], v[102:103], -v[96:97]
	v_add_f64 v[18:19], v[18:19], v[20:21]
	v_fma_f64 v[20:21], v[26:27], s[6:7], v[48:49]
	v_add_f64 v[48:49], v[72:73], v[74:75]
	v_add_f64 v[52:53], v[52:53], v[64:65]
	v_fma_f64 v[198:199], v[190:191], s[4:5], v[28:29]
	v_fma_f64 v[28:29], v[190:191], s[0:1], v[28:29]
	;; [unrolled: 1-line block ×5, first 2 shown]
	v_add_f64 v[0:1], v[0:1], v[118:119]
	v_fma_f64 v[30:31], v[188:189], s[4:5], v[30:31]
	v_add_f64 v[200:201], v[110:111], -v[108:109]
	v_add_f64 v[202:203], v[124:125], -v[112:113]
	;; [unrolled: 1-line block ×4, first 2 shown]
	v_add_f64 v[24:25], v[34:35], v[36:37]
	v_fma_f64 v[34:35], v[190:191], s[6:7], v[196:197]
	v_add_f64 v[126:127], v[8:9], v[131:132]
	v_add_f64 v[135:136], v[135:136], -v[66:67]
	v_fma_f64 v[208:209], v[40:41], s[0:1], v[32:33]
	v_add_f64 v[2:3], v[2:3], v[108:109]
	v_fma_f64 v[210:211], v[42:43], s[4:5], v[38:39]
	v_fma_f64 v[38:39], v[42:43], s[0:1], v[38:39]
	;; [unrolled: 1-line block ×3, first 2 shown]
	v_fma_f64 v[48:49], v[48:49], -0.5, v[8:9]
	v_add_f64 v[26:27], v[192:193], v[194:195]
	v_fma_f64 v[36:37], v[188:189], s[6:7], v[198:199]
	v_fma_f64 v[28:29], v[188:189], s[10:11], v[28:29]
	v_add_f64 v[6:7], v[6:7], v[143:144]
	v_fma_f64 v[20:21], v[18:19], s[12:13], v[20:21]
	v_fma_f64 v[12:13], v[18:19], s[12:13], v[12:13]
	v_add_f64 v[0:1], v[0:1], v[94:95]
	v_fma_f64 v[30:31], v[190:191], s[10:11], v[30:31]
	v_add_f64 v[133:134], v[133:134], -v[137:138]
	v_add_f64 v[66:67], v[200:201], v[202:203]
	v_fma_f64 v[64:65], v[52:53], s[12:13], v[64:65]
	v_add_f64 v[188:189], v[204:205], v[206:207]
	v_fma_f64 v[16:17], v[52:53], s[12:13], v[16:17]
	v_fma_f64 v[18:19], v[24:25], s[12:13], v[34:35]
	v_add_f64 v[34:35], v[131:132], v[44:45]
	ds_write2_b64 v186, v[22:23], v[4:5] offset0:20 offset1:30
	v_fma_f64 v[190:191], v[42:43], s[6:7], v[208:209]
	v_add_f64 v[2:3], v[2:3], v[112:113]
	v_fma_f64 v[192:193], v[40:41], s[6:7], v[210:211]
	v_fma_f64 v[38:39], v[40:41], s[10:11], v[38:39]
	;; [unrolled: 1-line block ×3, first 2 shown]
	v_add_f64 v[40:41], v[131:132], -v[72:73]
	v_add_f64 v[42:43], v[126:127], v[72:73]
	v_add_f64 v[126:127], v[44:45], -v[74:75]
	v_fma_f64 v[137:138], v[135:136], s[4:5], v[48:49]
	v_fma_f64 v[36:37], v[26:27], s[12:13], v[36:37]
	;; [unrolled: 1-line block ×3, first 2 shown]
	v_add_f64 v[6:7], v[6:7], v[106:107]
	v_add_f64 v[28:29], v[68:69], v[70:71]
	;; [unrolled: 1-line block ×3, first 2 shown]
	v_fma_f64 v[24:25], v[24:25], s[12:13], v[30:31]
	v_mul_u32_u24_e32 v22, 0x190, v181
	v_lshlrev_b32_sdwa v23, v177, v184 dst_sel:DWORD dst_unused:UNUSED_PAD src0_sel:DWORD src1_sel:WORD_0
	ds_write_b64 v186, v[14:15] offset:320
	v_add_f64 v[78:79], v[78:79], -v[46:47]
	v_add_f64 v[196:197], v[145:146], v[80:81]
	v_fma_f64 v[4:5], v[34:35], -0.5, v[8:9]
	v_lshlrev_b32_sdwa v8, v177, v183 dst_sel:DWORD dst_unused:UNUSED_PAD src0_sel:DWORD src1_sel:WORD_0
	v_fma_f64 v[30:31], v[66:67], s[12:13], v[190:191]
	v_add_f64 v[2:3], v[2:3], v[124:125]
	v_fma_f64 v[52:53], v[188:189], s[12:13], v[192:193]
	v_fma_f64 v[38:39], v[188:189], s[12:13], v[38:39]
	;; [unrolled: 1-line block ×3, first 2 shown]
	v_mul_u32_u24_e32 v66, 0x190, v179
	v_lshlrev_b32_sdwa v67, v177, v180 dst_sel:DWORD dst_unused:UNUSED_PAD src0_sel:DWORD src1_sel:WORD_0
	v_add3_u32 v203, 0, v22, v23
	v_add_f64 v[179:180], v[40:41], v[126:127]
	v_fma_f64 v[40:41], v[133:134], s[10:11], v[137:138]
	v_add_f64 v[42:43], v[42:43], v[74:75]
	v_add3_u32 v202, 0, v66, v67
	v_mul_u32_u24_e32 v66, 0x190, v182
	v_fma_f64 v[137:138], v[28:29], -0.5, v[10:11]
	v_add_f64 v[22:23], v[76:77], -v[68:69]
	v_add_f64 v[183:184], v[147:148], v[122:123]
	ds_write2_b64 v202, v[6:7], v[20:21] offset1:10
	v_add3_u32 v204, 0, v66, v8
	v_add_f64 v[6:7], v[10:11], v[76:77]
	ds_write2_b64 v202, v[64:65], v[16:17] offset0:20 offset1:30
	ds_write_b64 v202, v[12:13] offset:320
	ds_write2_b64 v203, v[0:1], v[18:19] offset1:10
	ds_write2_b64 v203, v[36:37], v[26:27] offset0:20 offset1:30
	ds_write_b64 v203, v[24:25] offset:320
	ds_write2_b64 v204, v[2:3], v[30:31] offset1:10
	ds_write2_b64 v204, v[52:53], v[38:39] offset0:20 offset1:30
	v_add_f64 v[0:1], v[76:77], v[149:150]
	v_add_f64 v[2:3], v[72:73], -v[131:132]
	v_add_f64 v[16:17], v[74:75], -v[44:45]
	v_fma_f64 v[18:19], v[133:134], s[0:1], v[4:5]
	v_fma_f64 v[4:5], v[133:134], s[4:5], v[4:5]
	;; [unrolled: 1-line block ×3, first 2 shown]
	v_add_f64 v[72:73], v[54:55], -v[50:51]
	v_add_f64 v[24:25], v[149:150], -v[70:71]
	v_add_f64 v[200:201], v[60:61], v[145:146]
	v_add_f64 v[155:156], v[155:156], -v[157:158]
	v_fma_f64 v[74:75], v[179:180], s[12:13], v[40:41]
	v_add_f64 v[181:182], v[42:43], v[44:45]
	v_lshl_add_u32 v126, v130, 3, 0
	ds_write_b64 v204, v[32:33] offset:320
	v_fma_f64 v[26:27], v[78:79], s[4:5], v[137:138]
	s_waitcnt lgkmcnt(0)
	v_fma_f64 v[157:158], v[183:184], -0.5, v[60:61]
	v_add_nc_u32_e32 v127, 0x1c00, v126
	s_barrier
	v_add_f64 v[6:7], v[6:7], v[68:69]
	v_add_f64 v[68:69], v[68:69], -v[76:77]
	buffer_gl0_inv
	v_fma_f64 v[0:1], v[0:1], -0.5, v[10:11]
	ds_read_b64 v[66:67], v159 offset:6480
	ds_read_b64 v[64:65], v126 offset:9720
	ds_read2_b64 v[12:15], v159 offset1:135
	v_add_f64 v[131:132], v[2:3], v[16:17]
	v_fma_f64 v[188:189], v[135:136], s[10:11], v[18:19]
	v_fma_f64 v[135:136], v[135:136], s[6:7], v[4:5]
	;; [unrolled: 1-line block ×3, first 2 shown]
	ds_read2_b64 v[52:55], v161 offset0:70 offset1:205
	ds_read2_b64 v[48:51], v160 offset0:12 offset1:147
	;; [unrolled: 1-line block ×5, first 2 shown]
	v_add_f64 v[190:191], v[22:23], v[24:25]
	v_add_f64 v[151:152], v[151:152], -v[153:154]
	v_fma_f64 v[60:61], v[196:197], -0.5, v[60:61]
	v_add_f64 v[153:154], v[90:91], v[82:83]
	v_add_f64 v[106:107], v[139:140], -v[106:107]
	v_add_f64 v[139:140], v[141:142], -v[143:144]
	v_add_f64 v[141:142], v[98:99], v[116:117]
	v_fma_f64 v[194:195], v[72:73], s[10:11], v[26:27]
	v_add_f64 v[143:144], v[102:103], v[96:97]
	v_add_f64 v[114:115], v[114:115], -v[120:121]
	v_add_f64 v[94:95], v[118:119], -v[94:95]
	v_add_f64 v[108:109], v[108:109], -v[112:113]
	v_add_f64 v[192:193], v[6:7], v[70:71]
	v_add_f64 v[70:71], v[70:71], -v[149:150]
	ds_read2_b64 v[4:7], v168 offset0:28 offset1:163
	v_fma_f64 v[76:77], v[72:73], s[0:1], v[0:1]
	v_fma_f64 v[198:199], v[72:73], s[4:5], v[0:1]
	ds_read2_b64 v[36:39], v166 offset0:98 offset1:233
	ds_read2_b64 v[32:35], v163 offset0:40 offset1:175
	;; [unrolled: 1-line block ×4, first 2 shown]
	v_fma_f64 v[183:184], v[131:132], s[12:13], v[188:189]
	v_fma_f64 v[131:132], v[131:132], s[12:13], v[135:136]
	;; [unrolled: 1-line block ×3, first 2 shown]
	ds_read2_b64 v[0:3], v127 offset0:49 offset1:184
	ds_read2_b64 v[20:23], v165 offset0:62 offset1:197
	;; [unrolled: 1-line block ×3, first 2 shown]
	s_waitcnt lgkmcnt(0)
	v_add_f64 v[179:180], v[86:87], v[84:85]
	s_barrier
	buffer_gl0_inv
	ds_write2_b64 v187, v[181:182], v[74:75] offset1:10
	v_add_f64 v[188:189], v[122:123], -v[80:81]
	ds_write2_b64 v187, v[183:184], v[131:132] offset0:20 offset1:30
	ds_write_b64 v187, v[133:134] offset:320
	v_add_f64 v[135:136], v[192:193], v[149:150]
	v_fma_f64 v[149:150], v[190:191], s[12:13], v[194:195]
	v_add_f64 v[68:69], v[68:69], v[70:71]
	v_fma_f64 v[70:71], v[78:79], s[10:11], v[76:77]
	v_fma_f64 v[74:75], v[78:79], s[6:7], v[198:199]
	;; [unrolled: 1-line block ×3, first 2 shown]
	v_add_f64 v[78:79], v[145:146], -v[147:148]
	v_add_f64 v[137:138], v[200:201], v[147:148]
	v_add_f64 v[145:146], v[147:148], -v[145:146]
	v_add_f64 v[131:132], v[104:105], v[88:89]
	v_add_f64 v[133:134], v[100:101], v[92:93]
	v_add_f64 v[181:182], v[80:81], -v[122:123]
	v_fma_f64 v[147:148], v[155:156], s[4:5], v[157:158]
	v_fma_f64 v[157:158], v[155:156], s[0:1], v[157:158]
	v_fma_f64 v[141:142], v[141:142], -0.5, v[58:59]
	v_add_f64 v[110:111], v[110:111], -v[124:125]
	v_add_f64 v[112:113], v[82:83], -v[84:85]
	ds_write2_b64 v185, v[135:136], v[149:150] offset1:10
	v_fma_f64 v[135:136], v[151:152], s[0:1], v[60:61]
	v_fma_f64 v[149:150], v[153:154], -0.5, v[62:63]
	v_fma_f64 v[153:154], v[179:180], -0.5, v[62:63]
	v_add_f64 v[62:63], v[62:63], v[86:87]
	v_fma_f64 v[72:73], v[72:73], s[6:7], v[76:77]
	v_add_f64 v[76:77], v[137:138], v[122:123]
	v_add_f64 v[137:138], v[145:146], v[188:189]
	;; [unrolled: 1-line block ×3, first 2 shown]
	v_fma_f64 v[120:121], v[131:132], -0.5, v[56:57]
	v_fma_f64 v[56:57], v[133:134], -0.5, v[56:57]
	v_fma_f64 v[70:71], v[68:69], s[12:13], v[70:71]
	v_fma_f64 v[68:69], v[68:69], s[12:13], v[74:75]
	v_add_f64 v[74:75], v[78:79], v[181:182]
	v_fma_f64 v[78:79], v[151:152], s[10:11], v[147:148]
	v_add_f64 v[147:148], v[58:59], v[98:99]
	v_fma_f64 v[58:59], v[143:144], -0.5, v[58:59]
	v_fma_f64 v[60:61], v[151:152], s[4:5], v[60:61]
	v_fma_f64 v[122:123], v[151:152], s[6:7], v[157:158]
	v_add_f64 v[131:132], v[86:87], -v[90:91]
	v_add_f64 v[133:134], v[84:85], -v[82:83]
	;; [unrolled: 1-line block ×4, first 2 shown]
	v_fma_f64 v[118:119], v[155:156], s[10:11], v[135:136]
	v_fma_f64 v[135:136], v[106:107], s[4:5], v[149:150]
	;; [unrolled: 1-line block ×3, first 2 shown]
	v_add_f64 v[62:63], v[62:63], v[90:91]
	v_fma_f64 v[90:91], v[106:107], s[0:1], v[149:150]
	v_add_f64 v[149:150], v[100:101], -v[104:105]
	v_add_f64 v[100:101], v[104:105], -v[100:101]
	v_add_f64 v[145:146], v[145:146], v[104:105]
	v_fma_f64 v[104:105], v[114:115], s[4:5], v[120:121]
	v_fma_f64 v[143:144], v[139:140], s[4:5], v[153:154]
	v_fma_f64 v[120:121], v[114:115], s[0:1], v[120:121]
	v_fma_f64 v[153:154], v[94:95], s[0:1], v[56:57]
	v_fma_f64 v[56:57], v[94:95], s[4:5], v[56:57]
	v_add_f64 v[157:158], v[88:89], -v[92:93]
	v_add_f64 v[179:180], v[98:99], -v[102:103]
	;; [unrolled: 1-line block ×3, first 2 shown]
	v_add_f64 v[147:148], v[147:148], v[102:103]
	v_add_f64 v[98:99], v[102:103], -v[98:99]
	v_add_f64 v[102:103], v[96:97], -v[116:117]
	v_fma_f64 v[183:184], v[108:109], s[0:1], v[141:142]
	v_fma_f64 v[141:142], v[108:109], s[4:5], v[141:142]
	;; [unrolled: 1-line block ×4, first 2 shown]
	v_add_f64 v[131:132], v[131:132], v[133:134]
	v_fma_f64 v[133:134], v[139:140], s[10:11], v[135:136]
	v_add_f64 v[62:63], v[62:63], v[82:83]
	v_fma_f64 v[90:91], v[139:140], s[6:7], v[90:91]
	;; [unrolled: 2-line block ×5, first 2 shown]
	v_fma_f64 v[106:107], v[106:107], s[6:7], v[143:144]
	v_fma_f64 v[94:95], v[94:95], s[6:7], v[120:121]
	v_add_f64 v[100:101], v[100:101], v[157:158]
	v_fma_f64 v[120:121], v[114:115], s[10:11], v[153:154]
	v_fma_f64 v[56:57], v[114:115], s[6:7], v[56:57]
	v_add_f64 v[114:115], v[179:180], v[181:182]
	v_add_f64 v[96:97], v[147:148], v[96:97]
	;; [unrolled: 1-line block ×3, first 2 shown]
	v_fma_f64 v[102:103], v[110:111], s[10:11], v[183:184]
	v_fma_f64 v[110:111], v[110:111], s[6:7], v[141:142]
	;; [unrolled: 1-line block ×4, first 2 shown]
	ds_write2_b64 v185, v[70:71], v[68:69] offset0:20 offset1:30
	v_fma_f64 v[68:69], v[190:191], s[12:13], v[72:73]
	v_add_f64 v[70:71], v[76:77], v[80:81]
	v_fma_f64 v[72:73], v[74:75], s[12:13], v[78:79]
	v_fma_f64 v[74:75], v[74:75], s[12:13], v[122:123]
	v_add_f64 v[62:63], v[62:63], v[84:85]
	v_fma_f64 v[78:79], v[131:132], s[12:13], v[133:134]
	v_fma_f64 v[80:81], v[82:83], s[12:13], v[86:87]
	v_fma_f64 v[84:85], v[131:132], s[12:13], v[90:91]
	v_add_f64 v[86:87], v[88:89], v[92:93]
	v_fma_f64 v[90:91], v[112:113], s[12:13], v[104:105]
	v_fma_f64 v[76:77], v[137:138], s[12:13], v[118:119]
	;; [unrolled: 1-line block ×7, first 2 shown]
	v_add_f64 v[100:101], v[96:97], v[116:117]
	v_fma_f64 v[102:103], v[98:99], s[12:13], v[102:103]
	v_fma_f64 v[104:105], v[98:99], s[12:13], v[110:111]
	;; [unrolled: 1-line block ×4, first 2 shown]
	v_lshrrev_b16 v56, 1, v175
	v_mov_b32_e32 v111, 0x147b
	v_mul_lo_u16 v57, v178, 41
	v_lshrrev_b16 v96, 1, v176
	ds_write_b64 v185, v[68:69] offset:320
	ds_write2_b64 v186, v[70:71], v[72:73] offset1:10
	ds_write2_b64 v186, v[76:77], v[60:61] offset0:20 offset1:30
	v_mul_u32_u24_sdwa v56, v56, v111 dst_sel:DWORD dst_unused:UNUSED_PAD src0_sel:WORD_0 src1_sel:DWORD
	v_lshrrev_b16 v97, 11, v57
	ds_write_b64 v186, v[74:75] offset:320
	ds_write2_b64 v202, v[62:63], v[78:79] offset1:10
	ds_write2_b64 v202, v[80:81], v[82:83] offset0:20 offset1:30
	ds_write_b64 v202, v[84:85] offset:320
	v_lshrrev_b32_e32 v56, 17, v56
	v_mul_lo_u16 v57, v97, 50
	ds_write2_b64 v203, v[86:87], v[90:91] offset1:10
	ds_write2_b64 v203, v[88:89], v[92:93] offset0:20 offset1:30
	v_lshrrev_b16 v93, 1, v172
	ds_write_b64 v203, v[94:95] offset:320
	v_mul_lo_u16 v60, v56, 50
	ds_write2_b64 v204, v[100:101], v[106:107] offset1:10
	ds_write2_b64 v204, v[102:103], v[104:105] offset0:20 offset1:30
	ds_write_b64 v204, v[58:59] offset:320
	v_mul_u32_u24_sdwa v58, v96, v111 dst_sel:DWORD dst_unused:UNUSED_PAD src0_sel:WORD_0 src1_sel:DWORD
	v_sub_nc_u16 v98, v130, v57
	v_sub_nc_u16 v57, v175, v60
	v_mul_u32_u24_sdwa v60, v93, v111 dst_sel:DWORD dst_unused:UNUSED_PAD src0_sel:WORD_0 src1_sel:DWORD
	v_mov_b32_e32 v88, 5
	v_lshrrev_b32_e32 v99, 17, v58
	v_lshrrev_b16 v94, 1, v173
	v_lshrrev_b16 v91, 1, v174
	v_lshrrev_b32_e32 v58, 17, v60
	v_lshlrev_b32_sdwa v59, v88, v98 dst_sel:DWORD dst_unused:UNUSED_PAD src0_sel:DWORD src1_sel:BYTE_0
	v_mul_lo_u16 v77, v99, 50
	v_lshlrev_b32_sdwa v76, v88, v57 dst_sel:DWORD dst_unused:UNUSED_PAD src0_sel:DWORD src1_sel:WORD_0
	s_waitcnt lgkmcnt(0)
	v_mul_lo_u16 v78, v58, 50
	s_barrier
	v_sub_nc_u16 v110, v176, v77
	buffer_gl0_inv
	s_clause 0x2
	global_load_dwordx4 v[60:63], v76, s[8:9] offset:640
	global_load_dwordx4 v[68:71], v59, s[8:9] offset:640
	;; [unrolled: 1-line block ×3, first 2 shown]
	v_sub_nc_u16 v101, v172, v78
	global_load_dwordx4 v[76:79], v76, s[8:9] offset:656
	v_mul_u32_u24_sdwa v59, v94, v111 dst_sel:DWORD dst_unused:UNUSED_PAD src0_sel:WORD_0 src1_sel:DWORD
	v_mul_u32_u24_sdwa v80, v91, v111 dst_sel:DWORD dst_unused:UNUSED_PAD src0_sel:WORD_0 src1_sel:DWORD
	v_lshlrev_b32_sdwa v81, v88, v110 dst_sel:DWORD dst_unused:UNUSED_PAD src0_sel:DWORD src1_sel:WORD_0
	v_lshlrev_b32_sdwa v82, v88, v101 dst_sel:DWORD dst_unused:UNUSED_PAD src0_sel:DWORD src1_sel:WORD_0
	s_clause 0x1
	global_load_dwordx4 v[84:87], v81, s[8:9] offset:640
	global_load_dwordx4 v[117:120], v82, s[8:9] offset:640
	v_lshrrev_b32_e32 v100, 17, v59
	v_lshrrev_b32_e32 v59, 17, v80
	v_add_nc_u32_e32 v107, 0x32a, v130
	v_add_nc_u32_e32 v104, 0x3b1, v130
	global_load_dwordx4 v[131:134], v82, s[8:9] offset:656
	v_mul_lo_u16 v80, v100, 50
	v_mul_lo_u16 v83, v59, 50
	v_lshrrev_b16 v95, 1, v107
	v_lshrrev_b16 v90, 1, v104
	global_load_dwordx4 v[121:124], v81, s[8:9] offset:656
	v_sub_nc_u16 v109, v173, v80
	v_sub_nc_u16 v103, v174, v83
	v_add_nc_u32_e32 v106, 0x438, v130
	v_mul_u32_u24_sdwa v83, v90, v111 dst_sel:DWORD dst_unused:UNUSED_PAD src0_sel:WORD_0 src1_sel:DWORD
	v_add_nc_u32_e32 v105, 0x4bf, v130
	v_lshlrev_b32_sdwa v80, v88, v109 dst_sel:DWORD dst_unused:UNUSED_PAD src0_sel:DWORD src1_sel:WORD_0
	v_lshlrev_b32_sdwa v82, v88, v103 dst_sel:DWORD dst_unused:UNUSED_PAD src0_sel:DWORD src1_sel:WORD_0
	v_lshrrev_b16 v92, 1, v106
	v_lshrrev_b32_e32 v102, 17, v83
	v_lshrrev_b16 v89, 1, v105
	s_clause 0x2
	global_load_dwordx4 v[135:138], v80, s[8:9] offset:640
	global_load_dwordx4 v[143:146], v80, s[8:9] offset:656
	;; [unrolled: 1-line block ×3, first 2 shown]
	v_mul_u32_u24_sdwa v81, v95, v111 dst_sel:DWORD dst_unused:UNUSED_PAD src0_sel:WORD_0 src1_sel:DWORD
	v_mul_lo_u16 v80, v102, 50
	global_load_dwordx4 v[147:150], v82, s[8:9] offset:656
	s_mov_b32 s4, 0xe8584caa
	s_mov_b32 s5, 0x3febb67a
	v_lshrrev_b32_e32 v108, 17, v81
	v_sub_nc_u16 v115, v104, v80
	v_mul_u32_u24_sdwa v80, v92, v111 dst_sel:DWORD dst_unused:UNUSED_PAD src0_sel:WORD_0 src1_sel:DWORD
	s_mov_b32 s7, 0xbfebb67a
	s_mov_b32 s6, s4
	v_mul_lo_u16 v81, v108, 50
	v_lshlrev_b32_sdwa v83, v88, v115 dst_sel:DWORD dst_unused:UNUSED_PAD src0_sel:DWORD src1_sel:WORD_0
	v_lshrrev_b32_e32 v114, 17, v80
	v_mul_u32_u24_e32 v99, 0x4b0, v99
	v_lshlrev_b32_sdwa v110, v177, v110 dst_sel:DWORD dst_unused:UNUSED_PAD src0_sel:DWORD src1_sel:WORD_0
	v_sub_nc_u16 v116, v107, v81
	v_mul_u32_u24_sdwa v81, v89, v111 dst_sel:DWORD dst_unused:UNUSED_PAD src0_sel:WORD_0 src1_sel:DWORD
	v_mul_lo_u16 v80, v114, 50
	v_mul_u32_u24_e32 v58, 0x4b0, v58
	v_cmp_gt_u32_e64 s0, 15, v130
	v_lshlrev_b32_sdwa v82, v88, v116 dst_sel:DWORD dst_unused:UNUSED_PAD src0_sel:DWORD src1_sel:WORD_0
	s_clause 0x3
	global_load_dwordx4 v[151:154], v82, s[8:9] offset:640
	global_load_dwordx4 v[155:158], v83, s[8:9] offset:640
	;; [unrolled: 1-line block ×4, first 2 shown]
	v_lshrrev_b32_e32 v111, 17, v81
	v_sub_nc_u16 v112, v106, v80
	v_mul_lo_u16 v81, v111, 50
	v_lshlrev_b32_sdwa v80, v88, v112 dst_sel:DWORD dst_unused:UNUSED_PAD src0_sel:DWORD src1_sel:WORD_0
	v_sub_nc_u16 v113, v105, v81
	v_lshlrev_b32_sdwa v81, v88, v113 dst_sel:DWORD dst_unused:UNUSED_PAD src0_sel:DWORD src1_sel:WORD_0
	s_clause 0x3
	global_load_dwordx4 v[186:189], v80, s[8:9] offset:640
	global_load_dwordx4 v[190:193], v81, s[8:9] offset:640
	global_load_dwordx4 v[194:197], v80, s[8:9] offset:656
	global_load_dwordx4 v[198:201], v81, s[8:9] offset:656
	ds_read2_b64 v[80:83], v161 offset0:70 offset1:205
	ds_read2_b64 v[202:205], v160 offset0:12 offset1:147
	;; [unrolled: 1-line block ×6, first 2 shown]
	s_waitcnt vmcnt(19) lgkmcnt(5)
	v_mul_f64 v[224:225], v[82:83], v[62:63]
	s_waitcnt vmcnt(18)
	v_mul_f64 v[222:223], v[80:81], v[70:71]
	v_mul_f64 v[70:71], v[52:53], v[70:71]
	;; [unrolled: 1-line block ×3, first 2 shown]
	s_waitcnt vmcnt(17) lgkmcnt(4)
	v_mul_f64 v[226:227], v[202:203], v[74:75]
	v_mul_f64 v[74:75], v[48:49], v[74:75]
	s_waitcnt vmcnt(16)
	v_mul_f64 v[228:229], v[204:205], v[78:79]
	v_mul_f64 v[78:79], v[50:51], v[78:79]
	s_waitcnt vmcnt(15) lgkmcnt(3)
	v_mul_f64 v[230:231], v[206:207], v[86:87]
	s_waitcnt vmcnt(14)
	v_mul_f64 v[232:233], v[208:209], v[119:120]
	v_mul_f64 v[86:87], v[44:45], v[86:87]
	v_fma_f64 v[52:53], v[52:53], v[68:69], -v[222:223]
	v_fma_f64 v[234:235], v[80:81], v[68:69], v[70:71]
	v_mul_f64 v[68:69], v[46:47], v[119:120]
	s_waitcnt vmcnt(12) lgkmcnt(2)
	v_mul_f64 v[119:120], v[210:211], v[123:124]
	v_fma_f64 v[80:81], v[54:55], v[60:61], -v[224:225]
	v_fma_f64 v[236:237], v[82:83], v[60:61], v[62:63]
	v_mul_f64 v[62:63], v[40:41], v[123:124]
	v_mul_f64 v[123:124], v[212:213], v[133:134]
	v_fma_f64 v[54:55], v[48:49], v[72:73], -v[226:227]
	v_mul_f64 v[133:134], v[42:43], v[133:134]
	v_fma_f64 v[48:49], v[202:203], v[72:73], v[74:75]
	s_waitcnt vmcnt(11) lgkmcnt(1)
	v_mul_f64 v[202:203], v[214:215], v[137:138]
	v_fma_f64 v[82:83], v[50:51], v[76:77], -v[228:229]
	v_mul_f64 v[50:51], v[36:37], v[137:138]
	s_waitcnt vmcnt(9)
	v_mul_f64 v[137:138], v[216:217], v[141:142]
	ds_read2_b64 v[222:225], v170 offset0:112 offset1:247
	v_fma_f64 v[70:71], v[44:45], v[84:85], -v[230:231]
	v_mul_f64 v[141:142], v[38:39], v[141:142]
	v_fma_f64 v[72:73], v[46:47], v[117:118], -v[232:233]
	ds_read2_b64 v[44:47], v167 offset0:54 offset1:189
	v_fma_f64 v[60:61], v[204:205], v[76:77], v[78:79]
	s_waitcnt lgkmcnt(2)
	v_mul_f64 v[204:205], v[218:219], v[145:146]
	v_fma_f64 v[206:207], v[206:207], v[84:85], v[86:87]
	v_mul_f64 v[84:85], v[32:33], v[145:146]
	v_fma_f64 v[145:146], v[208:209], v[117:118], v[68:69]
	v_fma_f64 v[76:77], v[40:41], v[121:122], -v[119:120]
	s_waitcnt vmcnt(8)
	v_mul_f64 v[86:87], v[220:221], v[149:150]
	v_mul_f64 v[149:150], v[34:35], v[149:150]
	v_fma_f64 v[62:63], v[210:211], v[121:122], v[62:63]
	v_fma_f64 v[74:75], v[42:43], v[131:132], -v[123:124]
	ds_read2_b64 v[40:43], v165 offset0:62 offset1:197
	v_fma_f64 v[68:69], v[212:213], v[131:132], v[133:134]
	v_add_f64 v[131:132], v[52:53], v[54:55]
	v_fma_f64 v[78:79], v[36:37], v[135:136], -v[202:203]
	ds_read2_b64 v[117:120], v171 offset0:68 offset1:203
	v_fma_f64 v[50:51], v[214:215], v[135:136], v[50:51]
	v_fma_f64 v[133:134], v[38:39], v[139:140], -v[137:138]
	s_waitcnt vmcnt(7) lgkmcnt(3)
	v_mul_f64 v[121:122], v[222:223], v[153:154]
	s_waitcnt vmcnt(6)
	v_mul_f64 v[36:37], v[224:225], v[157:158]
	s_waitcnt vmcnt(5) lgkmcnt(2)
	v_mul_f64 v[137:138], v[44:45], v[180:181]
	v_mul_f64 v[123:124], v[28:29], v[153:154]
	v_fma_f64 v[38:39], v[216:217], v[139:140], v[141:142]
	s_waitcnt vmcnt(4)
	v_mul_f64 v[141:142], v[46:47], v[184:185]
	v_mul_f64 v[139:140], v[24:25], v[180:181]
	v_fma_f64 v[135:136], v[32:33], v[143:144], -v[204:205]
	v_mul_f64 v[32:33], v[30:31], v[157:158]
	v_fma_f64 v[84:85], v[218:219], v[143:144], v[84:85]
	v_mul_f64 v[143:144], v[26:27], v[184:185]
	v_fma_f64 v[153:154], v[34:35], v[147:148], -v[86:87]
	v_fma_f64 v[86:87], v[220:221], v[147:148], v[149:150]
	s_waitcnt vmcnt(3) lgkmcnt(1)
	v_mul_f64 v[34:35], v[40:41], v[188:189]
	v_mul_f64 v[147:148], v[20:21], v[188:189]
	v_fma_f64 v[121:122], v[28:29], v[151:152], -v[121:122]
	s_waitcnt vmcnt(1) lgkmcnt(0)
	v_mul_f64 v[28:29], v[117:118], v[196:197]
	v_fma_f64 v[180:181], v[30:31], v[155:156], -v[36:37]
	v_add_f64 v[30:31], v[12:13], v[52:53]
	v_fma_f64 v[36:37], v[131:132], -0.5, v[12:13]
	v_add_f64 v[131:132], v[234:235], -v[48:49]
	v_mul_f64 v[149:150], v[42:43], v[192:193]
	v_mul_f64 v[157:158], v[22:23], v[192:193]
	v_fma_f64 v[137:138], v[24:25], v[178:179], -v[137:138]
	v_add_f64 v[24:25], v[80:81], v[82:83]
	v_fma_f64 v[123:124], v[222:223], v[151:152], v[123:124]
	v_mul_f64 v[151:152], v[16:17], v[196:197]
	s_waitcnt vmcnt(0)
	v_mul_f64 v[12:13], v[119:120], v[200:201]
	v_fma_f64 v[141:142], v[26:27], v[182:183], -v[141:142]
	v_add_f64 v[26:27], v[70:71], v[76:77]
	v_fma_f64 v[139:140], v[44:45], v[178:179], v[139:140]
	v_mov_b32_e32 v44, 0x4b0
	v_mul_f64 v[184:185], v[18:19], v[200:201]
	v_fma_f64 v[32:33], v[224:225], v[155:156], v[32:33]
	v_add_f64 v[178:179], v[72:73], v[74:75]
	v_fma_f64 v[155:156], v[20:21], v[186:187], -v[34:35]
	v_fma_f64 v[34:35], v[40:41], v[186:187], v[147:148]
	v_mul_u32_u24_sdwa v20, v97, v44 dst_sel:DWORD dst_unused:UNUSED_PAD src0_sel:WORD_0 src1_sel:DWORD
	v_lshlrev_b32_sdwa v21, v177, v98 dst_sel:DWORD dst_unused:UNUSED_PAD src0_sel:DWORD src1_sel:BYTE_0
	v_fma_f64 v[97:98], v[16:17], v[194:195], -v[28:29]
	v_add_f64 v[28:29], v[30:31], v[54:55]
	v_add_f64 v[186:187], v[234:235], v[48:49]
	v_fma_f64 v[30:31], v[131:132], s[4:5], v[36:37]
	v_fma_f64 v[147:148], v[22:23], v[190:191], -v[149:150]
	v_fma_f64 v[149:150], v[42:43], v[190:191], v[157:158]
	v_add_f64 v[42:43], v[14:15], v[80:81]
	v_fma_f64 v[40:41], v[24:25], -0.5, v[14:15]
	v_add_f64 v[44:45], v[236:237], -v[60:61]
	v_fma_f64 v[117:118], v[117:118], v[194:195], v[151:152]
	v_fma_f64 v[151:152], v[18:19], v[198:199], -v[12:13]
	ds_read2_b64 v[16:19], v159 offset1:135
	v_fma_f64 v[143:144], v[46:47], v[182:183], v[143:144]
	v_add_f64 v[46:47], v[8:9], v[70:71]
	v_fma_f64 v[8:9], v[26:27], -0.5, v[8:9]
	v_add_f64 v[157:158], v[206:207], -v[62:63]
	v_add3_u32 v125, 0, v20, v21
	v_fma_f64 v[119:120], v[119:120], v[198:199], v[184:185]
	ds_read_b64 v[182:183], v159 offset:6480
	ds_read_b64 v[184:185], v126 offset:9720
	ds_read2_b64 v[12:15], v164 offset0:14 offset1:149
	ds_read2_b64 v[20:23], v168 offset0:28 offset1:163
	v_add_f64 v[188:189], v[236:237], v[60:61]
	ds_read2_b64 v[24:27], v127 offset0:49 offset1:184
	s_waitcnt lgkmcnt(0)
	s_barrier
	buffer_gl0_inv
	ds_write2_b64 v125, v[28:29], v[30:31] offset1:50
	v_add_f64 v[28:29], v[78:79], v[135:136]
	v_fma_f64 v[36:37], v[131:132], s[6:7], v[36:37]
	v_fma_f64 v[178:179], v[178:179], -0.5, v[10:11]
	v_add_f64 v[10:11], v[10:11], v[72:73]
	v_add_f64 v[190:191], v[145:146], -v[68:69]
	v_add_f64 v[30:31], v[16:17], v[234:235]
	v_fma_f64 v[186:187], v[186:187], -0.5, v[16:17]
	v_add_f64 v[16:17], v[206:207], v[62:63]
	v_add_f64 v[42:43], v[42:43], v[82:83]
	v_fma_f64 v[131:132], v[44:45], s[4:5], v[40:41]
	v_fma_f64 v[40:41], v[44:45], s[6:7], v[40:41]
	v_add_f64 v[44:45], v[46:47], v[76:77]
	v_fma_f64 v[46:47], v[157:158], s[4:5], v[8:9]
	v_mul_u32_u24_e32 v196, 0x4b0, v56
	v_lshlrev_b32_sdwa v197, v177, v57 dst_sel:DWORD dst_unused:UNUSED_PAD src0_sel:DWORD src1_sel:WORD_0
	v_add3_u32 v199, 0, v99, v110
	v_fma_f64 v[188:189], v[188:189], -0.5, v[18:19]
	v_add_f64 v[56:57], v[4:5], v[78:79]
	v_add_f64 v[194:195], v[133:134], v[153:154]
	v_add3_u32 v198, 0, v196, v197
	v_add_f64 v[196:197], v[18:19], v[236:237]
	v_fma_f64 v[8:9], v[157:158], s[6:7], v[8:9]
	v_fma_f64 v[4:5], v[28:29], -0.5, v[4:5]
	v_add_f64 v[28:29], v[50:51], -v[84:85]
	ds_write_b64 v125, v[36:37] offset:800
	ds_write2_b64 v198, v[42:43], v[131:132] offset1:50
	ds_write_b64 v198, v[40:41] offset:800
	ds_write2_b64 v199, v[44:45], v[46:47] offset1:50
	v_add_f64 v[10:11], v[10:11], v[74:75]
	v_fma_f64 v[18:19], v[190:191], s[4:5], v[178:179]
	v_add_f64 v[131:132], v[12:13], v[206:207]
	v_fma_f64 v[157:158], v[16:17], -0.5, v[12:13]
	v_add_f64 v[12:13], v[121:122], v[137:138]
	v_add_f64 v[192:193], v[145:146], v[68:69]
	v_lshlrev_b32_sdwa v99, v177, v101 dst_sel:DWORD dst_unused:UNUSED_PAD src0_sel:DWORD src1_sel:WORD_0
	v_fma_f64 v[16:17], v[190:191], s[6:7], v[178:179]
	v_fma_f64 v[42:43], v[194:195], -0.5, v[6:7]
	v_add_f64 v[44:45], v[38:39], -v[86:87]
	v_add_f64 v[36:37], v[56:57], v[135:136]
	v_add3_u32 v200, 0, v58, v99
	ds_write_b64 v199, v[8:9] offset:800
	v_fma_f64 v[40:41], v[28:29], s[4:5], v[4:5]
	v_fma_f64 v[4:5], v[28:29], s[6:7], v[4:5]
	v_add_f64 v[28:29], v[123:124], -v[139:140]
	v_add_f64 v[145:146], v[14:15], v[145:146]
	v_mul_u32_u24_e32 v58, 0x4b0, v100
	v_lshlrev_b32_sdwa v99, v177, v109 dst_sel:DWORD dst_unused:UNUSED_PAD src0_sel:DWORD src1_sel:WORD_0
	v_add_f64 v[46:47], v[50:51], v[84:85]
	v_add_f64 v[56:57], v[147:148], v[151:152]
	;; [unrolled: 1-line block ×4, first 2 shown]
	ds_write2_b64 v200, v[10:11], v[18:19] offset1:50
	v_add_f64 v[18:19], v[66:67], v[121:122]
	v_add3_u32 v201, 0, v58, v99
	v_fma_f64 v[12:13], v[12:13], -0.5, v[66:67]
	v_add_f64 v[66:67], v[0:1], v[180:181]
	v_fma_f64 v[192:193], v[192:193], -0.5, v[14:15]
	v_add_f64 v[14:15], v[180:181], v[141:142]
	v_add_f64 v[10:11], v[38:39], v[86:87]
	ds_write_b64 v200, v[16:17] offset:800
	ds_write2_b64 v201, v[36:37], v[40:41] offset1:50
	v_fma_f64 v[16:17], v[44:45], s[4:5], v[42:43]
	v_fma_f64 v[42:43], v[44:45], s[6:7], v[42:43]
	v_add_f64 v[80:81], v[80:81], -v[82:83]
	v_add_f64 v[82:83], v[123:124], v[139:140]
	v_add_f64 v[99:100], v[20:21], v[50:51]
	;; [unrolled: 1-line block ×3, first 2 shown]
	v_fma_f64 v[109:110], v[46:47], -0.5, v[20:21]
	v_fma_f64 v[36:37], v[56:57], -0.5, v[64:65]
	v_add_f64 v[46:47], v[149:150], -v[119:120]
	v_fma_f64 v[8:9], v[8:9], -0.5, v[2:3]
	v_add_f64 v[2:3], v[2:3], v[155:156]
	v_add_f64 v[20:21], v[34:35], -v[117:118]
	v_add_f64 v[6:7], v[6:7], v[153:154]
	v_fma_f64 v[44:45], v[28:29], s[4:5], v[12:13]
	v_fma_f64 v[12:13], v[28:29], s[6:7], v[12:13]
	v_add_f64 v[28:29], v[66:67], v[141:142]
	v_add_f64 v[66:67], v[22:23], v[38:39]
	v_mul_u32_u24_e32 v38, 0x4b0, v102
	v_add_f64 v[101:102], v[52:53], -v[54:55]
	v_fma_f64 v[0:1], v[14:15], -0.5, v[0:1]
	v_add_f64 v[14:15], v[32:33], -v[143:144]
	v_fma_f64 v[64:65], v[10:11], -0.5, v[22:23]
	ds_write_b64 v201, v[4:5] offset:800
	v_add_f64 v[4:5], v[32:33], v[143:144]
	v_add_f64 v[70:71], v[70:71], -v[76:77]
	v_add_f64 v[72:73], v[72:73], -v[74:75]
	v_add_f64 v[74:75], v[78:79], -v[135:136]
	v_add_f64 v[76:77], v[149:150], v[119:120]
	v_add_f64 v[18:19], v[18:19], v[137:138]
	;; [unrolled: 1-line block ×3, first 2 shown]
	v_mul_u32_u24_e32 v58, 0x4b0, v59
	v_lshlrev_b32_sdwa v59, v177, v103 dst_sel:DWORD dst_unused:UNUSED_PAD src0_sel:DWORD src1_sel:WORD_0
	v_mul_u32_u24_e32 v56, 0x4b0, v108
	v_lshlrev_b32_sdwa v57, v177, v116 dst_sel:DWORD dst_unused:UNUSED_PAD src0_sel:DWORD src1_sel:WORD_0
	v_lshlrev_b32_sdwa v39, v177, v115 dst_sel:DWORD dst_unused:UNUSED_PAD src0_sel:DWORD src1_sel:WORD_0
	v_fma_f64 v[22:23], v[46:47], s[4:5], v[36:37]
	v_add3_u32 v103, 0, v58, v59
	v_fma_f64 v[36:37], v[46:47], s[6:7], v[36:37]
	v_add3_u32 v202, 0, v56, v57
	v_add_f64 v[190:191], v[30:31], v[48:49]
	v_fma_f64 v[194:195], v[101:102], s[6:7], v[186:187]
	v_fma_f64 v[78:79], v[101:102], s[4:5], v[186:187]
	v_add_f64 v[101:102], v[133:134], -v[153:154]
	v_fma_f64 v[50:51], v[14:15], s[4:5], v[0:1]
	v_fma_f64 v[0:1], v[14:15], s[6:7], v[0:1]
	v_add_f64 v[123:124], v[182:183], v[123:124]
	v_fma_f64 v[82:83], v[82:83], -0.5, v[182:183]
	v_add_f64 v[121:122], v[121:122], -v[137:138]
	v_add_f64 v[2:3], v[2:3], v[97:98]
	v_fma_f64 v[14:15], v[20:21], s[4:5], v[8:9]
	v_add_f64 v[60:61], v[196:197], v[60:61]
	v_fma_f64 v[133:134], v[80:81], s[6:7], v[188:189]
	v_fma_f64 v[80:81], v[80:81], s[4:5], v[188:189]
	;; [unrolled: 1-line block ×3, first 2 shown]
	v_add3_u32 v203, 0, v38, v39
	v_add_f64 v[20:21], v[40:41], v[151:152]
	ds_write2_b64 v103, v[6:7], v[16:17] offset1:50
	ds_write_b64 v103, v[42:43] offset:800
	ds_write2_b64 v202, v[18:19], v[44:45] offset1:50
	ds_write_b64 v202, v[12:13] offset:800
	ds_write2_b64 v203, v[28:29], v[50:51] offset1:50
	v_mul_u32_u24_e32 v6, 0x4b0, v114
	v_lshlrev_b32_sdwa v7, v177, v112 dst_sel:DWORD dst_unused:UNUSED_PAD src0_sel:DWORD src1_sel:WORD_0
	v_mul_u32_u24_e32 v12, 0x4b0, v111
	v_lshlrev_b32_sdwa v13, v177, v113 dst_sel:DWORD dst_unused:UNUSED_PAD src0_sel:DWORD src1_sel:WORD_0
	v_add_f64 v[111:112], v[24:25], v[32:33]
	v_fma_f64 v[113:114], v[4:5], -0.5, v[24:25]
	v_add_f64 v[62:63], v[131:132], v[62:63]
	v_fma_f64 v[131:132], v[70:71], s[6:7], v[157:158]
	v_fma_f64 v[70:71], v[70:71], s[4:5], v[157:158]
	v_add_f64 v[135:136], v[180:181], -v[141:142]
	v_add_f64 v[84:85], v[99:100], v[84:85]
	v_fma_f64 v[99:100], v[74:75], s[6:7], v[109:110]
	v_fma_f64 v[74:75], v[74:75], s[4:5], v[109:110]
	v_add_f64 v[66:67], v[66:67], v[86:87]
	v_fma_f64 v[76:77], v[76:77], -0.5, v[184:185]
	v_add_f64 v[108:109], v[147:148], -v[151:152]
	v_fma_f64 v[141:142], v[101:102], s[6:7], v[64:65]
	v_add_f64 v[68:69], v[145:146], v[68:69]
	v_fma_f64 v[137:138], v[72:73], s[6:7], v[192:193]
	v_fma_f64 v[64:65], v[101:102], s[4:5], v[64:65]
	v_fma_f64 v[115:116], v[10:11], -0.5, v[26:27]
	v_add_f64 v[178:179], v[26:27], v[34:35]
	v_add_f64 v[97:98], v[155:156], -v[97:98]
	v_fma_f64 v[72:73], v[72:73], s[4:5], v[192:193]
	v_add3_u32 v205, 0, v12, v13
	v_add3_u32 v204, 0, v6, v7
	v_add_f64 v[86:87], v[184:185], v[149:150]
	ds_write_b64 v203, v[0:1] offset:800
	ds_write2_b64 v204, v[2:3], v[14:15] offset1:50
	ds_write_b64 v204, v[8:9] offset:800
	ds_write2_b64 v205, v[20:21], v[22:23] offset1:50
	ds_write_b64 v205, v[36:37] offset:800
	s_waitcnt lgkmcnt(0)
	s_barrier
	buffer_gl0_inv
	ds_read_b64 v[58:59], v159 offset:6480
	ds_read_b64 v[56:57], v126 offset:9720
	ds_read2_b64 v[12:15], v159 offset1:135
	ds_read2_b64 v[52:55], v161 offset0:70 offset1:205
	ds_read2_b64 v[48:51], v160 offset0:12 offset1:147
	;; [unrolled: 1-line block ×13, first 2 shown]
	s_waitcnt lgkmcnt(0)
	s_barrier
	buffer_gl0_inv
	ds_write2_b64 v125, v[190:191], v[194:195] offset1:50
	ds_write_b64 v125, v[78:79] offset:800
	ds_write2_b64 v198, v[60:61], v[133:134] offset1:50
	v_add_f64 v[60:61], v[123:124], v[139:140]
	v_fma_f64 v[78:79], v[121:122], s[6:7], v[82:83]
	ds_write_b64 v198, v[80:81] offset:800
	v_fma_f64 v[80:81], v[121:122], s[4:5], v[82:83]
	ds_write2_b64 v199, v[62:63], v[131:132] offset1:50
	v_add_f64 v[62:63], v[111:112], v[143:144]
	v_fma_f64 v[82:83], v[135:136], s[6:7], v[113:114]
	ds_write_b64 v199, v[70:71] offset:800
	ds_write2_b64 v200, v[68:69], v[137:138] offset1:50
	ds_write_b64 v200, v[72:73] offset:800
	ds_write2_b64 v201, v[84:85], v[99:100] offset1:50
	;; [unrolled: 2-line block ×3, first 2 shown]
	ds_write_b64 v103, v[64:65] offset:800
	v_fma_f64 v[64:65], v[108:109], s[4:5], v[76:77]
	v_fma_f64 v[101:102], v[135:136], s[4:5], v[113:114]
	v_add_f64 v[110:111], v[178:179], v[117:118]
	v_fma_f64 v[112:113], v[97:98], s[6:7], v[115:116]
	v_fma_f64 v[97:98], v[97:98], s[4:5], v[115:116]
	v_add_nc_u32_e32 v66, -15, v130
	v_lshlrev_b32_e32 v72, 1, v130
	v_mov_b32_e32 v73, 0
	v_add_f64 v[68:69], v[86:87], v[119:120]
	v_fma_f64 v[70:71], v[108:109], s[6:7], v[76:77]
	v_cndmask_b32_e64 v86, v66, v175, s0
	v_mov_b32_e32 v143, 0xda75
	ds_write2_b64 v202, v[60:61], v[78:79] offset1:50
	ds_write_b64 v202, v[80:81] offset:800
	v_lshlrev_b64 v[60:61], 4, v[72:73]
	ds_write2_b64 v203, v[62:63], v[82:83] offset1:50
	ds_write_b64 v203, v[101:102] offset:800
	ds_write2_b64 v204, v[110:111], v[112:113] offset1:50
	ds_write_b64 v204, v[97:98] offset:800
	v_lshlrev_b32_e32 v62, 1, v86
	v_mov_b32_e32 v63, v73
	ds_write_b64 v205, v[64:65] offset:800
	v_mul_u32_u24_sdwa v64, v96, v143 dst_sel:DWORD dst_unused:UNUSED_PAD src0_sel:WORD_0 src1_sel:DWORD
	v_add_co_u32 v108, s0, s8, v60
	v_add_co_ci_u32_e64 v109, s0, s9, v61, s0
	v_lshlrev_b64 v[60:61], 4, v[62:63]
	v_lshrrev_b32_e32 v87, 22, v64
	v_add_co_u32 v62, s0, 0x800, v108
	v_mul_u32_u24_sdwa v66, v93, v143 dst_sel:DWORD dst_unused:UNUSED_PAD src0_sel:WORD_0 src1_sel:DWORD
	v_add_co_ci_u32_e64 v63, s0, 0, v109, s0
	v_mul_lo_u16 v67, 0x96, v87
	v_add_co_u32 v60, s0, s8, v60
	v_add_co_ci_u32_e64 v61, s0, s9, v61, s0
	v_lshrrev_b32_e32 v93, 22, v66
	v_sub_nc_u16 v97, v176, v67
	ds_write2_b64 v205, v[68:69], v[70:71] offset1:50
	v_add_co_u32 v68, s0, 0x800, v60
	v_add_co_ci_u32_e64 v69, s0, 0, v61, s0
	v_mul_lo_u16 v78, 0x96, v93
	v_add_co_u32 v64, s0, 0x8c0, v108
	v_lshlrev_b32_sdwa v79, v88, v97 dst_sel:DWORD dst_unused:UNUSED_PAD src0_sel:DWORD src1_sel:WORD_0
	v_add_co_ci_u32_e64 v65, s0, 0, v109, s0
	v_add_co_u32 v74, s0, 0x8c0, v60
	v_sub_nc_u16 v96, v172, v78
	v_add_co_ci_u32_e64 v75, s0, 0, v61, s0
	v_add_co_u32 v80, s0, s8, v79
	v_add_co_ci_u32_e64 v81, null, s9, 0, s0
	v_mul_u32_u24_sdwa v83, v94, v143 dst_sel:DWORD dst_unused:UNUSED_PAD src0_sel:WORD_0 src1_sel:DWORD
	v_lshlrev_b32_sdwa v82, v88, v96 dst_sel:DWORD dst_unused:UNUSED_PAD src0_sel:DWORD src1_sel:WORD_0
	v_add_co_u32 v78, s0, 0x800, v80
	v_add_co_ci_u32_e64 v79, s0, 0, v81, s0
	v_lshrrev_b32_e32 v94, 22, v83
	v_add_co_u32 v98, s0, s8, v82
	v_add_co_ci_u32_e64 v101, null, s9, 0, s0
	v_mul_u32_u24_sdwa v91, v91, v143 dst_sel:DWORD dst_unused:UNUSED_PAD src0_sel:WORD_0 src1_sel:DWORD
	v_mul_lo_u16 v99, 0x96, v94
	v_add_co_u32 v82, s0, 0x800, v98
	v_add_co_ci_u32_e64 v83, s0, 0, v101, s0
	v_lshrrev_b32_e32 v91, 22, v91
	v_add_co_u32 v84, s0, 0x8c0, v80
	v_sub_nc_u16 v99, v173, v99
	v_add_co_ci_u32_e64 v85, s0, 0, v81, s0
	v_add_co_u32 v100, s0, 0x8c0, v98
	v_mul_lo_u16 v98, 0x96, v91
	s_waitcnt lgkmcnt(0)
	s_barrier
	buffer_gl0_inv
	s_clause 0x5
	global_load_dwordx4 v[60:63], v[62:63], off offset:192
	global_load_dwordx4 v[64:67], v[64:65], off offset:16
	;; [unrolled: 1-line block ×6, first 2 shown]
	v_lshlrev_b32_sdwa v84, v88, v99 dst_sel:DWORD dst_unused:UNUSED_PAD src0_sel:DWORD src1_sel:WORD_0
	v_add_co_ci_u32_e64 v101, s0, 0, v101, s0
	v_sub_nc_u16 v98, v174, v98
	s_clause 0x1
	global_load_dwordx4 v[114:117], v[82:83], off offset:192
	global_load_dwordx4 v[118:121], v[100:101], off offset:16
	v_add_co_u32 v100, s0, s8, v84
	v_add_co_ci_u32_e64 v101, null, s9, 0, s0
	v_mul_u32_u24_sdwa v85, v95, v143 dst_sel:DWORD dst_unused:UNUSED_PAD src0_sel:WORD_0 src1_sel:DWORD
	v_lshlrev_b32_sdwa v84, v88, v98 dst_sel:DWORD dst_unused:UNUSED_PAD src0_sel:DWORD src1_sel:WORD_0
	v_add_co_u32 v82, s0, 0x800, v100
	v_add_co_ci_u32_e64 v83, s0, 0, v101, s0
	v_lshrrev_b32_e32 v95, 22, v85
	v_add_co_u32 v122, s0, s8, v84
	v_add_co_ci_u32_e64 v123, null, s9, 0, s0
	v_mul_u32_u24_sdwa v90, v90, v143 dst_sel:DWORD dst_unused:UNUSED_PAD src0_sel:WORD_0 src1_sel:DWORD
	v_mul_lo_u16 v124, 0x96, v95
	v_add_co_u32 v84, s0, 0x800, v122
	v_add_co_ci_u32_e64 v85, s0, 0, v123, s0
	v_lshrrev_b32_e32 v90, 22, v90
	v_add_co_u32 v102, s0, 0x8c0, v100
	v_sub_nc_u16 v100, v107, v124
	v_add_co_ci_u32_e64 v103, s0, 0, v101, s0
	v_add_co_u32 v139, s0, 0x8c0, v122
	v_mul_lo_u16 v101, 0x96, v90
	v_add_co_ci_u32_e64 v140, s0, 0, v123, s0
	s_clause 0x1
	global_load_dwordx4 v[122:125], v[82:83], off offset:192
	global_load_dwordx4 v[131:134], v[102:103], off offset:16
	v_lshlrev_b32_sdwa v82, v88, v100 dst_sel:DWORD dst_unused:UNUSED_PAD src0_sel:DWORD src1_sel:WORD_0
	s_clause 0x1
	global_load_dwordx4 v[135:138], v[84:85], off offset:192
	global_load_dwordx4 v[139:142], v[139:140], off offset:16
	v_mul_u32_u24_sdwa v84, v89, v143 dst_sel:DWORD dst_unused:UNUSED_PAD src0_sel:WORD_0 src1_sel:DWORD
	v_sub_nc_u16 v101, v104, v101
	v_lshlrev_b32_e32 v86, 3, v86
	v_add_co_u32 v102, s0, s8, v82
	v_mul_u32_u24_sdwa v82, v92, v143 dst_sel:DWORD dst_unused:UNUSED_PAD src0_sel:WORD_0 src1_sel:DWORD
	v_lshrrev_b32_e32 v84, 22, v84
	v_lshlrev_b32_sdwa v83, v88, v101 dst_sel:DWORD dst_unused:UNUSED_PAD src0_sel:DWORD src1_sel:WORD_0
	v_add_co_ci_u32_e64 v103, null, s9, 0, s0
	v_lshrrev_b32_e32 v89, 22, v82
	v_mul_lo_u16 v149, 0x96, v84
	v_add_co_u32 v147, s0, s8, v83
	v_add_co_ci_u32_e64 v148, null, s9, 0, s0
	v_mul_lo_u16 v92, 0x96, v89
	v_add_co_u32 v82, s0, 0x800, v102
	v_add_co_ci_u32_e64 v83, s0, 0, v103, s0
	v_sub_nc_u16 v149, v105, v149
	v_add_co_u32 v84, s0, 0x800, v147
	v_sub_nc_u16 v92, v106, v92
	v_add_co_ci_u32_e64 v85, s0, 0, v148, s0
	global_load_dwordx4 v[143:146], v[82:83], off offset:192
	v_add_co_u32 v82, s0, 0x8c0, v102
	v_and_b32_e32 v102, 0xffff, v149
	v_add_co_ci_u32_e64 v83, s0, 0, v103, s0
	v_lshlrev_b32_sdwa v103, v88, v92 dst_sel:DWORD dst_unused:UNUSED_PAD src0_sel:DWORD src1_sel:WORD_0
	v_add_co_u32 v155, s0, 0x8c0, v147
	v_lshlrev_b32_e32 v147, 5, v102
	v_add_co_ci_u32_e64 v156, s0, 0, v148, s0
	v_add_co_u32 v103, s0, s8, v103
	v_add_co_ci_u32_e64 v186, null, s9, 0, s0
	v_add_co_u32 v187, s0, s8, v147
	v_add_co_ci_u32_e64 v188, null, s9, 0, s0
	v_add_co_u32 v178, s0, 0x800, v103
	v_add_co_ci_u32_e64 v179, s0, 0, v186, s0
	v_add_co_u32 v182, s0, 0x800, v187
	v_add_co_ci_u32_e64 v183, s0, 0, v188, s0
	s_clause 0x4
	global_load_dwordx4 v[147:150], v[84:85], off offset:192
	global_load_dwordx4 v[151:154], v[82:83], off offset:16
	global_load_dwordx4 v[155:158], v[155:156], off offset:16
	global_load_dwordx4 v[178:181], v[178:179], off offset:192
	global_load_dwordx4 v[182:185], v[182:183], off offset:192
	v_add_co_u32 v82, s0, 0x8c0, v103
	v_add_co_ci_u32_e64 v83, s0, 0, v186, s0
	v_add_co_u32 v84, s0, 0x8c0, v187
	v_add_co_ci_u32_e64 v85, s0, 0, v188, s0
	s_clause 0x1
	global_load_dwordx4 v[186:189], v[82:83], off offset:16
	global_load_dwordx4 v[190:193], v[84:85], off offset:16
	ds_read2_b64 v[194:197], v161 offset0:70 offset1:205
	ds_read2_b64 v[198:201], v160 offset0:12 offset1:147
	;; [unrolled: 1-line block ×6, first 2 shown]
	v_cmp_lt_u32_e64 s0, 14, v130
	v_lshlrev_b32_sdwa v97, v177, v97 dst_sel:DWORD dst_unused:UNUSED_PAD src0_sel:DWORD src1_sel:WORD_0
	v_lshlrev_b32_sdwa v99, v177, v99 dst_sel:DWORD dst_unused:UNUSED_PAD src0_sel:DWORD src1_sel:WORD_0
	v_cndmask_b32_e64 v103, 0, 0xe10, s0
	s_waitcnt vmcnt(19) lgkmcnt(5)
	v_mul_f64 v[82:83], v[194:195], v[62:63]
	v_mul_f64 v[62:63], v[52:53], v[62:63]
	s_waitcnt vmcnt(17)
	v_mul_f64 v[218:219], v[196:197], v[70:71]
	s_waitcnt lgkmcnt(4)
	v_mul_f64 v[220:221], v[198:199], v[66:67]
	v_mul_f64 v[66:67], v[48:49], v[66:67]
	;; [unrolled: 1-line block ×3, first 2 shown]
	s_waitcnt vmcnt(16)
	v_mul_f64 v[222:223], v[200:201], v[76:77]
	v_mul_f64 v[76:77], v[50:51], v[76:77]
	s_waitcnt vmcnt(13) lgkmcnt(3)
	v_mul_f64 v[224:225], v[204:205], v[116:117]
	v_mul_f64 v[116:117], v[46:47], v[116:117]
	s_waitcnt vmcnt(12) lgkmcnt(2)
	v_mul_f64 v[228:229], v[208:209], v[120:121]
	v_mul_f64 v[120:121], v[42:43], v[120:121]
	v_fma_f64 v[84:85], v[52:53], v[60:61], -v[82:83]
	v_fma_f64 v[226:227], v[194:195], v[60:61], v[62:63]
	v_mul_f64 v[60:61], v[206:207], v[112:113]
	v_mul_f64 v[112:113], v[40:41], v[112:113]
	v_fma_f64 v[52:53], v[54:55], v[68:69], -v[218:219]
	v_fma_f64 v[54:55], v[48:49], v[64:65], -v[220:221]
	v_mul_f64 v[82:83], v[202:203], v[80:81]
	v_fma_f64 v[48:49], v[198:199], v[64:65], v[66:67]
	v_mul_f64 v[80:81], v[44:45], v[80:81]
	v_fma_f64 v[230:231], v[196:197], v[68:69], v[70:71]
	ds_read2_b64 v[194:197], v170 offset0:112 offset1:247
	v_fma_f64 v[50:51], v[50:51], v[74:75], -v[222:223]
	v_fma_f64 v[66:67], v[200:201], v[74:75], v[76:77]
	v_fma_f64 v[62:63], v[46:47], v[114:115], -v[224:225]
	v_fma_f64 v[114:115], v[204:205], v[114:115], v[116:117]
	v_fma_f64 v[70:71], v[42:43], v[118:119], -v[228:229]
	s_waitcnt vmcnt(11) lgkmcnt(1)
	v_mul_f64 v[218:219], v[210:211], v[124:125]
	s_waitcnt vmcnt(10)
	v_mul_f64 v[198:199], v[214:215], v[133:134]
	s_waitcnt vmcnt(9)
	v_mul_f64 v[220:221], v[212:213], v[137:138]
	v_mul_f64 v[124:125], v[36:37], v[124:125]
	;; [unrolled: 1-line block ×4, first 2 shown]
	v_fma_f64 v[74:75], v[40:41], v[110:111], -v[60:61]
	v_fma_f64 v[68:69], v[206:207], v[110:111], v[112:113]
	v_add_f64 v[110:111], v[84:85], v[54:55]
	s_waitcnt vmcnt(8)
	v_mul_f64 v[116:117], v[216:217], v[141:142]
	v_fma_f64 v[64:65], v[44:45], v[78:79], -v[82:83]
	ds_read2_b64 v[44:47], v167 offset0:54 offset1:189
	ds_read2_b64 v[40:43], v165 offset0:62 offset1:197
	v_fma_f64 v[133:134], v[202:203], v[78:79], v[80:81]
	v_fma_f64 v[60:61], v[208:209], v[118:119], v[120:121]
	v_mul_f64 v[118:119], v[34:35], v[141:142]
	v_add_f64 v[200:201], v[52:53], v[50:51]
	v_fma_f64 v[78:79], v[36:37], v[122:123], -v[218:219]
	v_fma_f64 v[82:83], v[32:33], v[131:132], -v[198:199]
	;; [unrolled: 1-line block ×3, first 2 shown]
	ds_read2_b64 v[36:39], v171 offset0:68 offset1:203
	v_fma_f64 v[112:113], v[210:211], v[122:123], v[124:125]
	v_fma_f64 v[120:121], v[212:213], v[135:136], v[137:138]
	v_fma_f64 v[76:77], v[214:215], v[131:132], v[76:77]
	v_add_f64 v[198:199], v[226:227], -v[48:49]
	v_fma_f64 v[110:111], v[110:111], -0.5, v[12:13]
	s_waitcnt vmcnt(7) lgkmcnt(3)
	v_mul_f64 v[32:33], v[194:195], v[145:146]
	v_mul_f64 v[122:123], v[28:29], v[145:146]
	v_fma_f64 v[116:117], v[34:35], v[139:140], -v[116:117]
	v_fma_f64 v[118:119], v[216:217], v[139:140], v[118:119]
	v_fma_f64 v[122:123], v[194:195], v[143:144], v[122:123]
	s_waitcnt vmcnt(6)
	v_mul_f64 v[124:125], v[196:197], v[149:150]
	v_mul_f64 v[131:132], v[30:31], v[149:150]
	s_waitcnt vmcnt(5) lgkmcnt(2)
	v_mul_f64 v[135:136], v[44:45], v[153:154]
	v_mul_f64 v[137:138], v[24:25], v[153:154]
	s_waitcnt vmcnt(4)
	v_mul_f64 v[141:142], v[46:47], v[157:158]
	v_mul_f64 v[145:146], v[26:27], v[157:158]
	s_waitcnt vmcnt(3) lgkmcnt(1)
	v_mul_f64 v[149:150], v[40:41], v[180:181]
	v_mul_f64 v[153:154], v[20:21], v[180:181]
	v_add_f64 v[180:181], v[12:13], v[84:85]
	s_waitcnt vmcnt(2)
	v_mul_f64 v[12:13], v[22:23], v[184:185]
	v_mul_f64 v[157:158], v[42:43], v[184:185]
	s_waitcnt vmcnt(1)
	v_mul_f64 v[34:35], v[16:17], v[188:189]
	s_waitcnt lgkmcnt(0)
	v_mul_f64 v[184:185], v[36:37], v[188:189]
	v_fma_f64 v[188:189], v[28:29], v[143:144], -v[32:33]
	s_waitcnt vmcnt(0)
	v_mul_f64 v[28:29], v[18:19], v[192:193]
	v_add_f64 v[32:33], v[64:65], v[74:75]
	v_mul_f64 v[139:140], v[38:39], v[192:193]
	v_add3_u32 v192, 0, v103, v86
	v_mul_u32_u24_e32 v103, 0xe10, v87
	v_fma_f64 v[124:125], v[30:31], v[147:148], -v[124:125]
	v_fma_f64 v[30:31], v[196:197], v[147:148], v[131:132]
	v_fma_f64 v[131:132], v[24:25], v[151:152], -v[135:136]
	v_fma_f64 v[135:136], v[44:45], v[151:152], v[137:138]
	;; [unrolled: 2-line block ×3, first 2 shown]
	v_add_f64 v[151:152], v[14:15], v[52:53]
	v_fma_f64 v[40:41], v[40:41], v[178:179], v[153:154]
	v_add_f64 v[153:154], v[230:231], -v[66:67]
	v_fma_f64 v[147:148], v[42:43], v[182:183], v[12:13]
	v_fma_f64 v[42:43], v[200:201], -0.5, v[14:15]
	v_fma_f64 v[145:146], v[22:23], v[182:183], -v[157:158]
	v_add_f64 v[44:45], v[180:181], v[54:55]
	v_fma_f64 v[46:47], v[198:199], s[4:5], v[110:111]
	v_fma_f64 v[155:156], v[36:37], v[186:187], v[34:35]
	v_add_f64 v[36:37], v[62:63], v[70:71]
	v_add_f64 v[34:35], v[8:9], v[64:65]
	v_fma_f64 v[157:158], v[38:39], v[190:191], v[28:29]
	v_fma_f64 v[8:9], v[32:33], -0.5, v[8:9]
	v_add_f64 v[28:29], v[133:134], -v[68:69]
	v_add_f64 v[32:33], v[226:227], v[48:49]
	v_add_f64 v[38:39], v[78:79], v[82:83]
	v_fma_f64 v[143:144], v[20:21], v[178:179], -v[149:150]
	v_fma_f64 v[149:150], v[16:17], v[186:187], -v[184:185]
	v_add_f64 v[182:183], v[230:231], v[66:67]
	v_fma_f64 v[139:140], v[18:19], v[190:191], -v[139:140]
	ds_read_b64 v[178:179], v159 offset:6480
	ds_read_b64 v[180:181], v126 offset:9720
	ds_read2_b64 v[12:15], v159 offset1:135
	ds_read2_b64 v[16:19], v164 offset0:14 offset1:149
	ds_read2_b64 v[20:23], v168 offset0:28 offset1:163
	v_fma_f64 v[110:111], v[198:199], s[6:7], v[110:111]
	v_add_f64 v[151:152], v[151:152], v[50:51]
	ds_read2_b64 v[24:27], v127 offset0:49 offset1:184
	s_waitcnt lgkmcnt(0)
	s_barrier
	v_fma_f64 v[184:185], v[153:154], s[4:5], v[42:43]
	v_fma_f64 v[42:43], v[153:154], s[6:7], v[42:43]
	v_add_f64 v[153:154], v[114:115], -v[60:61]
	buffer_gl0_inv
	ds_write2_b64 v159, v[44:45], v[46:47] offset1:150
	v_fma_f64 v[36:37], v[36:37], -0.5, v[10:11]
	v_add_f64 v[10:11], v[10:11], v[62:63]
	v_add_f64 v[34:35], v[34:35], v[74:75]
	;; [unrolled: 1-line block ×3, first 2 shown]
	v_fma_f64 v[186:187], v[28:29], s[4:5], v[8:9]
	v_fma_f64 v[8:9], v[28:29], s[6:7], v[8:9]
	v_add3_u32 v193, 0, v103, v97
	v_add_f64 v[44:45], v[12:13], v[226:227]
	v_fma_f64 v[190:191], v[32:33], -0.5, v[12:13]
	v_add_f64 v[12:13], v[4:5], v[78:79]
	v_fma_f64 v[4:5], v[38:39], -0.5, v[4:5]
	v_add_f64 v[32:33], v[112:113], -v[76:77]
	v_add_f64 v[38:39], v[114:115], v[60:61]
	v_fma_f64 v[86:87], v[182:183], -0.5, v[14:15]
	v_add_f64 v[182:183], v[14:15], v[230:231]
	ds_write_b64 v159, v[110:111] offset:2400
	ds_write2_b64 v192, v[151:152], v[184:185] offset1:150
	ds_write_b64 v192, v[42:43] offset:2400
	ds_write2_b64 v193, v[34:35], v[186:187] offset1:150
	v_add_f64 v[10:11], v[10:11], v[70:71]
	v_fma_f64 v[14:15], v[153:154], s[4:5], v[36:37]
	v_add_f64 v[34:35], v[80:81], v[116:117]
	v_fma_f64 v[28:29], v[153:154], s[6:7], v[36:37]
	v_add_f64 v[110:111], v[16:17], v[133:134]
	v_fma_f64 v[133:134], v[46:47], -0.5, v[16:17]
	v_add_f64 v[16:17], v[188:189], v[131:132]
	v_mul_u32_u24_e32 v46, 0xe10, v93
	v_lshlrev_b32_sdwa v47, v177, v96 dst_sel:DWORD dst_unused:UNUSED_PAD src0_sel:DWORD src1_sel:WORD_0
	v_add_f64 v[36:37], v[124:125], v[137:138]
	v_add_f64 v[12:13], v[12:13], v[82:83]
	v_fma_f64 v[42:43], v[32:33], s[4:5], v[4:5]
	ds_write_b64 v193, v[8:9] offset:2400
	v_add3_u32 v186, 0, v46, v47
	v_add_f64 v[8:9], v[143:144], v[149:150]
	v_fma_f64 v[96:97], v[38:39], -0.5, v[18:19]
	v_add_f64 v[38:39], v[112:113], v[76:77]
	v_add_f64 v[46:47], v[120:121], v[118:119]
	v_mul_u32_u24_e32 v103, 0xe10, v94
	v_add_f64 v[93:94], v[18:19], v[114:115]
	v_add_f64 v[18:19], v[120:121], -v[118:119]
	v_add_f64 v[112:113], v[20:21], v[112:113]
	v_add_f64 v[120:121], v[22:23], v[120:121]
	ds_write2_b64 v186, v[10:11], v[14:15] offset1:150
	v_add_f64 v[10:11], v[145:146], v[139:140]
	v_fma_f64 v[14:15], v[34:35], -0.5, v[6:7]
	v_add_f64 v[6:7], v[6:7], v[80:81]
	ds_write_b64 v186, v[28:29] offset:2400
	v_fma_f64 v[16:17], v[16:17], -0.5, v[58:59]
	v_add_f64 v[28:29], v[58:59], v[188:189]
	v_add_f64 v[34:35], v[122:123], -v[135:136]
	v_add_f64 v[58:59], v[0:1], v[124:125]
	v_fma_f64 v[0:1], v[36:37], -0.5, v[0:1]
	v_add_f64 v[36:37], v[30:31], -v[141:142]
	v_add3_u32 v187, 0, v103, v99
	v_fma_f64 v[4:5], v[32:33], s[6:7], v[4:5]
	v_fma_f64 v[8:9], v[8:9], -0.5, v[2:3]
	v_add_f64 v[2:3], v[2:3], v[143:144]
	v_fma_f64 v[114:115], v[38:39], -0.5, v[20:21]
	ds_write2_b64 v187, v[12:13], v[42:43] offset1:150
	v_add_f64 v[12:13], v[40:41], -v[155:156]
	v_fma_f64 v[151:152], v[46:47], -0.5, v[22:23]
	v_add_f64 v[20:21], v[56:57], v[145:146]
	v_add_f64 v[22:23], v[147:148], -v[157:158]
	v_mul_u32_u24_e32 v42, 0xe10, v91
	v_lshlrev_b32_sdwa v43, v177, v98 dst_sel:DWORD dst_unused:UNUSED_PAD src0_sel:DWORD src1_sel:WORD_0
	v_fma_f64 v[10:11], v[10:11], -0.5, v[56:57]
	v_fma_f64 v[32:33], v[18:19], s[4:5], v[14:15]
	v_add_f64 v[6:7], v[6:7], v[116:117]
	v_fma_f64 v[14:15], v[18:19], s[6:7], v[14:15]
	v_mul_u32_u24_e32 v46, 0xe10, v95
	v_add_f64 v[18:19], v[28:29], v[131:132]
	v_fma_f64 v[28:29], v[34:35], s[4:5], v[16:17]
	v_fma_f64 v[16:17], v[34:35], s[6:7], v[16:17]
	v_add_f64 v[34:35], v[58:59], v[137:138]
	v_fma_f64 v[38:39], v[36:37], s[4:5], v[0:1]
	v_fma_f64 v[0:1], v[36:37], s[6:7], v[0:1]
	v_lshlrev_b32_sdwa v47, v177, v100 dst_sel:DWORD dst_unused:UNUSED_PAD src0_sel:DWORD src1_sel:WORD_0
	v_mul_u32_u24_e32 v56, 0xe10, v90
	v_add_f64 v[2:3], v[2:3], v[149:150]
	v_lshlrev_b32_sdwa v57, v177, v101 dst_sel:DWORD dst_unused:UNUSED_PAD src0_sel:DWORD src1_sel:WORD_0
	v_add3_u32 v194, 0, v42, v43
	v_fma_f64 v[36:37], v[12:13], s[4:5], v[8:9]
	v_fma_f64 v[8:9], v[12:13], s[6:7], v[8:9]
	v_add_f64 v[12:13], v[20:21], v[139:140]
	v_add3_u32 v195, 0, v46, v47
	v_add3_u32 v196, 0, v56, v57
	ds_write_b64 v187, v[4:5] offset:2400
	v_fma_f64 v[20:21], v[22:23], s[4:5], v[10:11]
	ds_write2_b64 v194, v[6:7], v[32:33] offset1:150
	ds_write_b64 v194, v[14:15] offset:2400
	ds_write2_b64 v195, v[18:19], v[28:29] offset1:150
	ds_write_b64 v195, v[16:17] offset:2400
	ds_write2_b64 v196, v[34:35], v[38:39] offset1:150
	v_mul_u32_u24_e32 v6, 0xe10, v89
	v_lshlrev_b32_sdwa v7, v177, v92 dst_sel:DWORD dst_unused:UNUSED_PAD src0_sel:DWORD src1_sel:WORD_0
	v_lshl_add_u32 v197, v102, 3, 0
	v_add_f64 v[16:17], v[122:123], v[135:136]
	ds_write_b64 v196, v[0:1] offset:2400
	v_add_f64 v[4:5], v[30:31], v[141:142]
	v_add3_u32 v198, 0, v6, v7
	v_add_nc_u32_e32 v199, 0x7000, v197
	ds_write2_b64 v198, v[2:3], v[36:37] offset1:150
	ds_write_b64 v198, v[8:9] offset:2400
	ds_write2_b64 v199, v[12:13], v[20:21] offset0:16 offset1:166
	v_add_f64 v[2:3], v[52:53], -v[50:51]
	v_add_f64 v[42:43], v[40:41], v[155:156]
	v_add_f64 v[66:67], v[182:183], v[66:67]
	;; [unrolled: 1-line block ×3, first 2 shown]
	v_add_f64 v[0:1], v[84:85], -v[54:55]
	v_add_f64 v[64:65], v[64:65], -v[74:75]
	;; [unrolled: 1-line block ×5, first 2 shown]
	v_add_f64 v[80:81], v[178:179], v[122:123]
	v_fma_f64 v[82:83], v[16:17], -0.5, v[178:179]
	v_add_f64 v[89:90], v[24:25], v[30:31]
	v_fma_f64 v[91:92], v[4:5], -0.5, v[24:25]
	v_add_f64 v[68:69], v[110:111], v[68:69]
	v_add_f64 v[110:111], v[124:125], -v[137:138]
	v_add_f64 v[100:101], v[26:27], v[40:41]
	v_add_f64 v[116:117], v[143:144], -v[149:150]
	v_add_f64 v[122:123], v[180:181], v[147:148]
	v_fma_f64 v[10:11], v[22:23], s[6:7], v[10:11]
	v_add_f64 v[84:85], v[44:45], v[48:49]
	v_add_f64 v[60:61], v[93:94], v[60:61]
	;; [unrolled: 1-line block ×3, first 2 shown]
	v_fma_f64 v[184:185], v[2:3], s[6:7], v[86:87]
	v_fma_f64 v[74:75], v[2:3], s[4:5], v[86:87]
	v_add_f64 v[86:87], v[188:189], -v[131:132]
	v_fma_f64 v[98:99], v[42:43], -0.5, v[26:27]
	v_fma_f64 v[124:125], v[182:183], -0.5, v[180:181]
	v_add_f64 v[131:132], v[145:146], -v[139:140]
	v_fma_f64 v[102:103], v[0:1], s[6:7], v[190:191]
	v_fma_f64 v[137:138], v[64:65], s[6:7], v[133:134]
	;; [unrolled: 1-line block ×8, first 2 shown]
	v_add_f64 v[112:113], v[120:121], v[118:119]
	v_fma_f64 v[114:115], v[78:79], s[6:7], v[151:152]
	v_fma_f64 v[78:79], v[78:79], s[4:5], v[151:152]
	v_add_f64 v[80:81], v[80:81], v[135:136]
	v_add_f64 v[100:101], v[100:101], v[155:156]
	ds_write_b64 v197, v[10:11] offset:31200
	s_waitcnt lgkmcnt(0)
	s_barrier
	buffer_gl0_inv
	ds_read_b64 v[58:59], v159 offset:6480
	ds_read_b64 v[56:57], v126 offset:9720
	ds_read2_b64 v[12:15], v159 offset1:135
	ds_read2_b64 v[48:51], v161 offset0:70 offset1:205
	ds_read2_b64 v[36:39], v160 offset0:12 offset1:147
	v_fma_f64 v[118:119], v[86:87], s[6:7], v[82:83]
	v_fma_f64 v[82:83], v[86:87], s[4:5], v[82:83]
	v_add_f64 v[86:87], v[89:90], v[141:142]
	v_fma_f64 v[89:90], v[110:111], s[6:7], v[91:92]
	v_fma_f64 v[91:92], v[110:111], s[4:5], v[91:92]
	;; [unrolled: 1-line block ×4, first 2 shown]
	v_add_f64 v[116:117], v[122:123], v[157:158]
	v_fma_f64 v[120:121], v[131:132], s[6:7], v[124:125]
	ds_read2_b64 v[8:11], v164 offset0:14 offset1:149
	ds_read2_b64 v[52:55], v162 offset0:84 offset1:219
	;; [unrolled: 1-line block ×11, first 2 shown]
	s_waitcnt lgkmcnt(0)
	s_barrier
	buffer_gl0_inv
	ds_write2_b64 v159, v[84:85], v[102:103] offset1:150
	ds_write_b64 v159, v[153:154] offset:2400
	ds_write2_b64 v192, v[66:67], v[184:185] offset1:150
	ds_write_b64 v192, v[74:75] offset:2400
	v_fma_f64 v[66:67], v[131:132], s[4:5], v[124:125]
	ds_write2_b64 v193, v[68:69], v[137:138] offset1:150
	ds_write_b64 v193, v[64:65] offset:2400
	ds_write2_b64 v186, v[60:61], v[93:94] offset1:150
	ds_write_b64 v186, v[62:63] offset:2400
	;; [unrolled: 2-line block ×4, first 2 shown]
	ds_write2_b64 v195, v[80:81], v[118:119] offset1:150
	v_lshlrev_b32_e32 v60, 1, v175
	v_mov_b32_e32 v61, v73
	v_add_co_u32 v62, s0, 0x1800, v108
	v_add_co_ci_u32_e64 v63, s0, 0, v109, s0
	v_lshlrev_b64 v[60:61], 4, v[60:61]
	ds_write_b64 v195, v[82:83] offset:2400
	ds_write2_b64 v196, v[86:87], v[89:90] offset1:150
	ds_write_b64 v196, v[91:92] offset:2400
	ds_write2_b64 v198, v[100:101], v[110:111] offset1:150
	ds_write_b64 v198, v[97:98] offset:2400
	ds_write2_b64 v199, v[116:117], v[120:121] offset0:16 offset1:166
	v_mov_b32_e32 v85, v73
	v_add_nc_u32_e32 v94, 0xb4, v72
	v_mov_b32_e32 v95, v73
	v_add_nc_u32_e32 v72, 0x1c2, v72
	v_add_co_u32 v110, s0, s8, v60
	v_add_co_ci_u32_e64 v111, s0, s9, v61, s0
	v_lshlrev_b32_e32 v60, 1, v176
	v_add_co_u32 v68, s0, 0x1800, v110
	v_add_co_ci_u32_e64 v69, s0, 0, v111, s0
	v_add_co_u32 v64, s0, 0x1b80, v108
	v_add_co_ci_u32_e64 v65, s0, 0, v109, s0
	ds_write_b64 v197, v[66:67] offset:31200
	v_subrev_nc_u32_e32 v66, 45, v130
	v_cmp_gt_u32_e64 s0, 45, v130
	v_mov_b32_e32 v61, v73
	s_waitcnt lgkmcnt(0)
	s_barrier
	buffer_gl0_inv
	v_cndmask_b32_e64 v76, v66, v172, s0
	v_add_co_u32 v74, s0, 0x1b80, v110
	v_lshlrev_b64 v[82:83], 4, v[60:61]
	v_add_co_ci_u32_e64 v75, s0, 0, v111, s0
	v_lshlrev_b32_e32 v84, 1, v76
	s_clause 0x3
	global_load_dwordx4 v[60:63], v[62:63], off offset:896
	global_load_dwordx4 v[64:67], v[64:65], off offset:16
	;; [unrolled: 1-line block ×4, first 2 shown]
	v_add_co_u32 v112, s0, s8, v82
	v_lshlrev_b64 v[74:75], 4, v[84:85]
	v_add_co_ci_u32_e64 v113, s0, s9, v83, s0
	v_add_co_u32 v77, s0, s8, v74
	v_add_co_ci_u32_e64 v82, s0, s9, v75, s0
	v_add_co_u32 v74, s0, 0x1800, v112
	;; [unrolled: 2-line block ×5, first 2 shown]
	v_add_co_ci_u32_e64 v99, s0, 0, v82, s0
	s_clause 0x1
	global_load_dwordx4 v[82:85], v[74:75], off offset:896
	global_load_dwordx4 v[90:93], v[89:90], off offset:16
	v_lshlrev_b64 v[74:75], 4, v[94:95]
	v_mov_b32_e32 v89, 0x91a3
	s_clause 0x1
	global_load_dwordx4 v[94:97], v[86:87], off offset:896
	global_load_dwordx4 v[98:101], v[98:99], off offset:16
	v_add_co_u32 v77, s0, s8, v74
	v_add_co_ci_u32_e64 v102, s0, s9, v75, s0
	v_lshlrev_b64 v[74:75], 4, v[72:73]
	v_mul_u32_u24_sdwa v72, v107, v89 dst_sel:DWORD dst_unused:UNUSED_PAD src0_sel:WORD_0 src1_sel:DWORD
	v_add_co_u32 v86, s0, 0x1800, v77
	v_add_co_ci_u32_e64 v87, s0, 0, v102, s0
	v_mul_u32_u24_sdwa v116, v104, v89 dst_sel:DWORD dst_unused:UNUSED_PAD src0_sel:WORD_0 src1_sel:DWORD
	v_add_co_u32 v114, s0, s8, v74
	v_lshrrev_b32_e32 v72, 24, v72
	v_add_co_ci_u32_e64 v115, s0, s9, v75, s0
	v_add_co_u32 v74, s0, 0x1b80, v77
	v_lshrrev_b32_e32 v116, 24, v116
	v_add_co_ci_u32_e64 v75, s0, 0, v102, s0
	v_mul_lo_u16 v103, 0x1c2, v72
	s_clause 0x1
	global_load_dwordx4 v[117:120], v[86:87], off offset:896
	global_load_dwordx4 v[121:124], v[74:75], off offset:16
	v_mul_lo_u16 v87, 0x1c2, v116
	v_add_co_u32 v102, s0, 0x1800, v114
	v_sub_nc_u16 v77, v107, v103
	v_add_co_ci_u32_e64 v103, s0, 0, v115, s0
	v_sub_nc_u16 v87, v104, v87
	v_add_co_u32 v74, s0, 0x1b80, v114
	v_lshlrev_b32_sdwa v86, v88, v77 dst_sel:DWORD dst_unused:UNUSED_PAD src0_sel:DWORD src1_sel:WORD_0
	v_add_co_ci_u32_e64 v75, s0, 0, v115, s0
	v_and_b32_e32 v114, 0xffff, v87
	v_mul_u32_u24_sdwa v116, v106, v89 dst_sel:DWORD dst_unused:UNUSED_PAD src0_sel:WORD_0 src1_sel:DWORD
	v_add_co_u32 v88, s0, s8, v86
	v_add_co_ci_u32_e64 v115, null, s9, 0, s0
	v_lshlrev_b32_e32 v125, 5, v114
	s_clause 0x1
	global_load_dwordx4 v[131:134], v[102:103], off offset:896
	global_load_dwordx4 v[135:138], v[74:75], off offset:16
	v_mul_u32_u24_sdwa v75, v105, v89 dst_sel:DWORD dst_unused:UNUSED_PAD src0_sel:WORD_0 src1_sel:DWORD
	v_add_co_u32 v86, s0, 0x1800, v88
	v_lshrrev_b32_e32 v74, 24, v116
	v_add_co_ci_u32_e64 v87, s0, 0, v115, s0
	v_add_co_u32 v102, s0, s8, v125
	v_lshrrev_b32_e32 v116, 24, v75
	v_add_co_ci_u32_e64 v103, null, s9, 0, s0
	v_mul_lo_u16 v89, 0x1c2, v74
	v_add_co_u32 v74, s0, 0x1800, v102
	v_mul_lo_u16 v116, 0x1c2, v116
	v_add_co_ci_u32_e64 v75, s0, 0, v103, s0
	v_sub_nc_u16 v125, v106, v89
	v_add_co_u32 v88, s0, 0x1b80, v88
	v_add_co_ci_u32_e64 v89, s0, 0, v115, s0
	v_sub_nc_u16 v116, v105, v116
	v_and_b32_e32 v115, 0xffff, v125
	s_clause 0x1
	global_load_dwordx4 v[139:142], v[86:87], off offset:896
	global_load_dwordx4 v[143:146], v[88:89], off offset:16
	v_add_co_u32 v102, s0, 0x1b80, v102
	v_and_b32_e32 v116, 0xffff, v116
	v_add_co_ci_u32_e64 v103, s0, 0, v103, s0
	v_lshlrev_b32_e32 v86, 5, v115
	s_clause 0x1
	global_load_dwordx4 v[147:150], v[74:75], off offset:896
	global_load_dwordx4 v[151:154], v[102:103], off offset:16
	v_lshlrev_b32_e32 v74, 5, v116
	v_add_nc_u32_e32 v125, 0x1c00, v159
	v_add_co_u32 v88, s0, s8, v86
	v_add_co_ci_u32_e64 v89, null, s9, 0, s0
	v_add_co_u32 v102, s0, s8, v74
	v_add_co_ci_u32_e64 v103, null, s9, 0, s0
	v_add_co_u32 v74, s0, 0x1800, v88
	v_add_co_ci_u32_e64 v75, s0, 0, v89, s0
	v_add_co_u32 v86, s0, 0x1800, v102
	v_add_co_ci_u32_e64 v87, s0, 0, v103, s0
	s_clause 0x1
	global_load_dwordx4 v[155:158], v[74:75], off offset:896
	global_load_dwordx4 v[178:181], v[86:87], off offset:896
	v_add_co_u32 v74, s0, 0x1b80, v88
	v_add_co_ci_u32_e64 v75, s0, 0, v89, s0
	v_add_co_u32 v86, s0, 0x1b80, v102
	v_add_co_ci_u32_e64 v87, s0, 0, v103, s0
	s_clause 0x1
	global_load_dwordx4 v[182:185], v[74:75], off offset:16
	global_load_dwordx4 v[186:189], v[86:87], off offset:16
	ds_read2_b64 v[86:89], v161 offset0:70 offset1:205
	ds_read2_b64 v[190:193], v160 offset0:12 offset1:147
	;; [unrolled: 1-line block ×7, first 2 shown]
	v_cmp_lt_u32_e64 s0, 44, v130
	s_waitcnt vmcnt(19) lgkmcnt(6)
	v_mul_f64 v[74:75], v[86:87], v[62:63]
	v_mul_f64 v[62:63], v[48:49], v[62:63]
	s_waitcnt vmcnt(17)
	v_mul_f64 v[102:103], v[88:89], v[70:71]
	v_mul_f64 v[70:71], v[50:51], v[70:71]
	s_waitcnt lgkmcnt(5)
	v_mul_f64 v[175:176], v[190:191], v[66:67]
	s_waitcnt vmcnt(16)
	v_mul_f64 v[214:215], v[192:193], v[80:81]
	v_mul_f64 v[66:67], v[36:37], v[66:67]
	;; [unrolled: 1-line block ×3, first 2 shown]
	v_fma_f64 v[74:75], v[48:49], v[60:61], -v[74:75]
	v_fma_f64 v[48:49], v[86:87], v[60:61], v[62:63]
	v_fma_f64 v[218:219], v[50:51], v[68:69], -v[102:103]
	v_fma_f64 v[50:51], v[88:89], v[68:69], v[70:71]
	v_fma_f64 v[175:176], v[36:37], v[64:65], -v[175:176]
	v_fma_f64 v[214:215], v[38:39], v[78:79], -v[214:215]
	v_fma_f64 v[60:61], v[190:191], v[64:65], v[66:67]
	v_fma_f64 v[64:65], v[192:193], v[78:79], v[80:81]
	ds_read2_b64 v[36:39], v167 offset0:54 offset1:189
	s_waitcnt vmcnt(15) lgkmcnt(5)
	v_mul_f64 v[216:217], v[194:195], v[84:85]
	v_mul_f64 v[84:85], v[52:53], v[84:85]
	s_waitcnt vmcnt(14)
	v_mul_f64 v[70:71], v[44:45], v[92:93]
	s_waitcnt vmcnt(13)
	v_mul_f64 v[62:63], v[196:197], v[96:97]
	v_mul_f64 v[86:87], v[54:55], v[96:97]
	s_waitcnt lgkmcnt(4)
	v_mul_f64 v[96:97], v[198:199], v[92:93]
	s_waitcnt vmcnt(12)
	v_mul_f64 v[92:93], v[200:201], v[100:101]
	v_mul_f64 v[100:101], v[46:47], v[100:101]
	v_fma_f64 v[66:67], v[52:53], v[82:83], -v[216:217]
	v_fma_f64 v[52:53], v[194:195], v[82:83], v[84:85]
	v_fma_f64 v[80:81], v[198:199], v[90:91], v[70:71]
	v_fma_f64 v[68:69], v[54:55], v[94:95], -v[62:63]
	v_fma_f64 v[88:89], v[196:197], v[94:95], v[86:87]
	v_fma_f64 v[78:79], v[44:45], v[90:91], -v[96:97]
	v_fma_f64 v[84:85], v[46:47], v[98:99], -v[92:93]
	ds_read2_b64 v[44:47], v165 offset0:62 offset1:197
	s_waitcnt vmcnt(11) lgkmcnt(4)
	v_mul_f64 v[102:103], v[202:203], v[119:120]
	v_mul_f64 v[119:120], v[40:41], v[119:120]
	s_waitcnt vmcnt(10) lgkmcnt(3)
	v_mul_f64 v[220:221], v[206:207], v[123:124]
	v_mul_f64 v[123:124], v[32:33], v[123:124]
	v_fma_f64 v[62:63], v[200:201], v[98:99], v[100:101]
	s_waitcnt vmcnt(9)
	v_mul_f64 v[190:191], v[204:205], v[133:134]
	v_mul_f64 v[133:134], v[42:43], v[133:134]
	s_waitcnt vmcnt(8)
	v_mul_f64 v[192:193], v[208:209], v[137:138]
	v_mul_f64 v[54:55], v[34:35], v[137:138]
	v_fma_f64 v[82:83], v[40:41], v[117:118], -v[102:103]
	v_fma_f64 v[92:93], v[202:203], v[117:118], v[119:120]
	v_add_f64 v[117:118], v[74:75], v[175:176]
	v_add_f64 v[119:120], v[218:219], v[214:215]
	v_fma_f64 v[70:71], v[206:207], v[121:122], v[123:124]
	v_fma_f64 v[90:91], v[32:33], v[121:122], -v[220:221]
	v_add_nc_u32_e32 v207, 0x2c00, v126
	v_fma_f64 v[86:87], v[42:43], v[131:132], -v[190:191]
	ds_read2_b64 v[40:43], v171 offset0:68 offset1:203
	v_fma_f64 v[94:95], v[204:205], v[131:132], v[133:134]
	s_waitcnt vmcnt(7) lgkmcnt(3)
	v_mul_f64 v[137:138], v[210:211], v[141:142]
	v_mul_f64 v[141:142], v[28:29], v[141:142]
	v_fma_f64 v[96:97], v[208:209], v[135:136], v[54:55]
	s_waitcnt vmcnt(6) lgkmcnt(2)
	v_mul_f64 v[54:55], v[36:37], v[145:146]
	v_mul_f64 v[121:122], v[24:25], v[145:146]
	v_add_f64 v[145:146], v[14:15], v[218:219]
	v_fma_f64 v[98:99], v[34:35], v[135:136], -v[192:193]
	v_fma_f64 v[14:15], v[119:120], -0.5, v[14:15]
	s_waitcnt vmcnt(5)
	v_mul_f64 v[32:33], v[212:213], v[149:150]
	s_waitcnt vmcnt(4)
	v_mul_f64 v[123:124], v[38:39], v[153:154]
	v_mul_f64 v[34:35], v[30:31], v[149:150]
	v_mul_f64 v[131:132], v[26:27], v[153:154]
	v_add_nc_u32_e32 v208, 0x3800, v126
	v_add_nc_u32_e32 v209, 0x4800, v126
	v_fma_f64 v[100:101], v[28:29], v[139:140], -v[137:138]
	v_add_f64 v[28:29], v[66:67], v[78:79]
	v_fma_f64 v[102:103], v[210:211], v[139:140], v[141:142]
	v_add_f64 v[141:142], v[12:13], v[74:75]
	v_fma_f64 v[12:13], v[117:118], -0.5, v[12:13]
	v_fma_f64 v[192:193], v[24:25], v[143:144], -v[54:55]
	s_waitcnt vmcnt(3) lgkmcnt(1)
	v_mul_f64 v[133:134], v[44:45], v[157:158]
	v_mul_f64 v[135:136], v[20:21], v[157:158]
	v_add_f64 v[24:25], v[8:9], v[66:67]
	s_waitcnt vmcnt(2)
	v_mul_f64 v[137:138], v[46:47], v[180:181]
	v_mul_f64 v[139:140], v[22:23], v[180:181]
	v_fma_f64 v[194:195], v[26:27], v[151:152], -v[123:124]
	v_add_f64 v[26:27], v[52:53], -v[80:81]
	v_fma_f64 v[190:191], v[30:31], v[147:148], -v[32:33]
	v_fma_f64 v[147:148], v[212:213], v[147:148], v[34:35]
	v_fma_f64 v[151:152], v[38:39], v[151:152], v[131:132]
	v_add_f64 v[30:31], v[10:11], v[68:69]
	v_add_f64 v[34:35], v[82:83], v[90:91]
	;; [unrolled: 1-line block ×3, first 2 shown]
	s_waitcnt vmcnt(1) lgkmcnt(0)
	v_mul_f64 v[149:150], v[40:41], v[184:185]
	v_mul_f64 v[153:154], v[16:17], v[184:185]
	s_waitcnt vmcnt(0)
	v_mul_f64 v[157:158], v[42:43], v[188:189]
	v_mul_f64 v[180:181], v[18:19], v[188:189]
	v_add_f64 v[184:185], v[48:49], -v[60:61]
	v_add_f64 v[188:189], v[50:51], -v[64:65]
	v_fma_f64 v[8:9], v[28:29], -0.5, v[8:9]
	v_add_f64 v[28:29], v[145:146], v[214:215]
	v_fma_f64 v[143:144], v[36:37], v[143:144], v[121:122]
	v_fma_f64 v[196:197], v[20:21], v[155:156], -v[133:134]
	v_add_f64 v[20:21], v[68:69], v[84:85]
	v_fma_f64 v[155:156], v[44:45], v[155:156], v[135:136]
	v_fma_f64 v[198:199], v[22:23], v[178:179], -v[137:138]
	v_add_f64 v[22:23], v[141:142], v[175:176]
	v_fma_f64 v[139:140], v[46:47], v[178:179], v[139:140]
	v_add_f64 v[24:25], v[24:25], v[78:79]
	v_add_f64 v[36:37], v[86:87], v[98:99]
	v_lshl_add_u32 v210, v115, 3, 0
	v_add_f64 v[200:201], v[94:95], v[96:97]
	v_lshl_add_u32 v211, v116, 3, 0
	v_fma_f64 v[4:5], v[34:35], -0.5, v[4:5]
	v_add_f64 v[66:67], v[66:67], -v[78:79]
	v_fma_f64 v[141:142], v[16:17], v[182:183], -v[149:150]
	v_fma_f64 v[145:146], v[40:41], v[182:183], v[153:154]
	v_fma_f64 v[149:150], v[18:19], v[186:187], -v[157:158]
	v_add_f64 v[40:41], v[6:7], v[86:87]
	v_fma_f64 v[16:17], v[184:185], s[6:7], v[12:13]
	v_fma_f64 v[18:19], v[188:189], s[6:7], v[14:15]
	;; [unrolled: 1-line block ×4, first 2 shown]
	v_add_f64 v[26:27], v[100:101], v[192:193]
	ds_read_b64 v[157:158], v159 offset:6480
	ds_read_b64 v[178:179], v126 offset:9720
	ds_read2_b64 v[117:120], v159 offset1:135
	v_fma_f64 v[10:11], v[20:21], -0.5, v[10:11]
	v_add_f64 v[20:21], v[88:89], -v[62:63]
	ds_read2_b64 v[121:124], v164 offset0:14 offset1:149
	ds_read2_b64 v[131:134], v168 offset0:28 offset1:163
	;; [unrolled: 1-line block ×3, first 2 shown]
	s_waitcnt lgkmcnt(0)
	s_barrier
	buffer_gl0_inv
	ds_write2_b64 v159, v[22:23], v[28:29] offset1:135
	ds_write2_b64 v125, v[16:17], v[18:19] offset0:4 offset1:139
	v_lshlrev_b32_e32 v28, 3, v76
	v_cndmask_b32_e64 v29, 0, 0x2a30, s0
	v_fma_f64 v[12:13], v[184:185], s[4:5], v[12:13]
	v_fma_f64 v[14:15], v[188:189], s[4:5], v[14:15]
	v_add_f64 v[16:17], v[30:31], v[84:85]
	v_add_f64 v[30:31], v[40:41], v[98:99]
	v_fma_f64 v[22:23], v[20:21], s[4:5], v[10:11]
	v_fma_f64 v[10:11], v[20:21], s[6:7], v[10:11]
	v_add_f64 v[20:21], v[92:93], -v[70:71]
	v_add3_u32 v206, 0, v29, v28
	v_add_f64 v[28:29], v[38:39], v[90:91]
	ds_write_b64 v159, v[8:9] offset:9360
	v_fma_f64 v[8:9], v[26:27], -0.5, v[58:59]
	v_add_f64 v[26:27], v[58:59], v[100:101]
	v_add_f64 v[18:19], v[190:191], v[194:195]
	v_fma_f64 v[153:154], v[42:43], v[186:187], v[180:181]
	v_fma_f64 v[6:7], v[36:37], -0.5, v[6:7]
	v_add_f64 v[38:39], v[56:57], v[198:199]
	v_add_f64 v[58:59], v[218:219], -v[214:215]
	v_add_f64 v[34:35], v[155:156], -v[145:146]
	v_lshlrev_b32_sdwa v40, v177, v77 dst_sel:DWORD dst_unused:UNUSED_PAD src0_sel:DWORD src1_sel:WORD_0
	v_lshl_add_u32 v177, v114, 3, 0
	v_add_f64 v[184:185], v[52:53], v[80:81]
	v_add_f64 v[186:187], v[88:89], v[62:63]
	ds_write2_b64 v164, v[24:25], v[12:13] offset0:14 offset1:194
	ds_write2_b64 v168, v[14:15], v[32:33] offset0:73 offset1:208
	v_add_f64 v[14:15], v[198:199], v[149:150]
	ds_write_b64 v206, v[16:17]
	ds_write_b64 v206, v[22:23] offset:3600
	ds_write_b64 v206, v[10:11] offset:7200
	v_add_f64 v[12:13], v[196:197], v[141:142]
	v_fma_f64 v[10:11], v[20:21], s[4:5], v[4:5]
	v_fma_f64 v[4:5], v[20:21], s[6:7], v[4:5]
	ds_write2_b64 v207, v[28:29], v[30:31] offset0:32 offset1:167
	v_add_f64 v[28:29], v[50:51], v[64:65]
	v_add_f64 v[24:25], v[94:95], -v[96:97]
	v_add_f64 v[20:21], v[26:27], v[192:193]
	v_add_f64 v[26:27], v[48:49], v[60:61]
	v_fma_f64 v[16:17], v[18:19], -0.5, v[0:1]
	v_add_f64 v[18:19], v[147:148], -v[151:152]
	v_add_f64 v[0:1], v[0:1], v[190:191]
	v_add_f64 v[32:33], v[102:103], -v[143:144]
	v_add_f64 v[36:37], v[139:140], -v[153:154]
	v_mul_u32_u24_e32 v41, 0x2a30, v72
	v_add_f64 v[188:189], v[92:93], v[70:71]
	v_add_f64 v[204:205], v[102:103], v[143:144]
	;; [unrolled: 1-line block ×4, first 2 shown]
	v_add3_u32 v72, 0, v41, v40
	v_fma_f64 v[14:15], v[14:15], -0.5, v[56:57]
	v_add_f64 v[56:57], v[74:75], -v[175:176]
	v_add_f64 v[68:69], v[68:69], -v[84:85]
	v_fma_f64 v[12:13], v[12:13], -0.5, v[2:3]
	v_add_f64 v[2:3], v[2:3], v[196:197]
	v_add_f64 v[92:93], v[131:132], v[92:93]
	;; [unrolled: 1-line block ×3, first 2 shown]
	v_fma_f64 v[180:181], v[28:29], -0.5, v[119:120]
	v_fma_f64 v[22:23], v[24:25], s[4:5], v[6:7]
	v_fma_f64 v[6:7], v[24:25], s[6:7], v[6:7]
	v_fma_f64 v[175:176], v[26:27], -0.5, v[117:118]
	v_add_f64 v[116:117], v[117:118], v[48:49]
	v_fma_f64 v[30:31], v[18:19], s[4:5], v[16:17]
	v_add_f64 v[0:1], v[0:1], v[194:195]
	v_fma_f64 v[16:17], v[18:19], s[6:7], v[16:17]
	v_fma_f64 v[24:25], v[32:33], s[4:5], v[8:9]
	;; [unrolled: 1-line block ×3, first 2 shown]
	v_add_f64 v[32:33], v[38:39], v[149:150]
	v_add_f64 v[118:119], v[119:120], v[50:51]
	v_fma_f64 v[131:132], v[188:189], -0.5, v[131:132]
	v_fma_f64 v[78:79], v[200:201], -0.5, v[133:134]
	v_add_f64 v[82:83], v[82:83], -v[90:91]
	v_add_f64 v[84:85], v[86:87], -v[98:99]
	v_add_f64 v[86:87], v[157:158], v[102:103]
	v_fma_f64 v[90:91], v[204:205], -0.5, v[157:158]
	v_fma_f64 v[18:19], v[34:35], s[4:5], v[12:13]
	v_add_f64 v[2:3], v[2:3], v[141:142]
	v_fma_f64 v[12:13], v[34:35], s[6:7], v[12:13]
	v_fma_f64 v[34:35], v[36:37], s[4:5], v[14:15]
	;; [unrolled: 1-line block ×4, first 2 shown]
	ds_write2_b64 v208, v[10:11], v[22:23] offset0:98 offset1:233
	v_fma_f64 v[114:115], v[56:57], s[4:5], v[175:176]
	ds_write2_b64 v209, v[4:5], v[6:7] offset0:36 offset1:171
	ds_write_b64 v72, v[20:21]
	ds_write_b64 v72, v[24:25] offset:3600
	ds_write_b64 v72, v[8:9] offset:7200
	;; [unrolled: 1-line block ×11, first 2 shown]
	s_waitcnt lgkmcnt(0)
	s_barrier
	buffer_gl0_inv
	ds_read_b64 v[74:75], v159 offset:6480
	ds_read_b64 v[76:77], v126 offset:9720
	ds_read2_b64 v[8:11], v159 offset1:135
	ds_read2_b64 v[44:47], v161 offset0:70 offset1:205
	ds_read2_b64 v[36:39], v160 offset0:12 offset1:147
	;; [unrolled: 1-line block ×13, first 2 shown]
	s_waitcnt lgkmcnt(0)
	s_barrier
	buffer_gl0_inv
	ds_write2_b64 v125, v[114:115], v[182:183] offset0:4 offset1:139
	v_fma_f64 v[114:115], v[184:185], -0.5, v[121:122]
	v_add_f64 v[120:121], v[147:148], v[151:152]
	v_fma_f64 v[122:123], v[186:187], -0.5, v[123:124]
	v_add_f64 v[124:125], v[155:156], v[145:146]
	v_add_f64 v[182:183], v[139:140], v[153:154]
	v_add_f64 v[98:99], v[100:101], -v[192:193]
	v_add_f64 v[102:103], v[135:136], v[147:148]
	v_add_f64 v[60:61], v[116:117], v[60:61]
	v_add_f64 v[100:101], v[190:191], -v[194:195]
	v_add_f64 v[64:65], v[118:119], v[64:65]
	v_add_f64 v[118:119], v[137:138], v[155:156]
	;; [unrolled: 1-line block ×3, first 2 shown]
	v_fma_f64 v[56:57], v[56:57], s[6:7], v[175:176]
	v_add_f64 v[80:81], v[202:203], v[80:81]
	v_fma_f64 v[58:59], v[58:59], s[6:7], v[180:181]
	v_add_f64 v[62:63], v[88:89], v[62:63]
	v_add_f64 v[70:71], v[92:93], v[70:71]
	;; [unrolled: 1-line block ×3, first 2 shown]
	v_fma_f64 v[94:95], v[82:83], s[6:7], v[131:132]
	v_fma_f64 v[96:97], v[84:85], s[6:7], v[78:79]
	;; [unrolled: 1-line block ×5, first 2 shown]
	v_fma_f64 v[116:117], v[120:121], -0.5, v[135:136]
	v_fma_f64 v[66:67], v[66:67], s[4:5], v[114:115]
	v_fma_f64 v[120:121], v[124:125], -0.5, v[137:138]
	v_add_f64 v[124:125], v[196:197], -v[141:142]
	v_fma_f64 v[135:136], v[182:183], -0.5, v[178:179]
	v_add_f64 v[137:138], v[198:199], -v[149:150]
	v_fma_f64 v[88:89], v[68:69], s[6:7], v[122:123]
	v_fma_f64 v[68:69], v[68:69], s[4:5], v[122:123]
	v_add_f64 v[84:85], v[86:87], v[143:144]
	v_fma_f64 v[86:87], v[98:99], s[6:7], v[90:91]
	v_fma_f64 v[90:91], v[98:99], s[4:5], v[90:91]
	v_add_f64 v[98:99], v[102:103], v[151:152]
	v_add_f64 v[114:115], v[118:119], v[145:146]
	v_fma_f64 v[102:103], v[100:101], s[6:7], v[116:117]
	v_fma_f64 v[100:101], v[100:101], s[4:5], v[116:117]
	;; [unrolled: 1-line block ×4, first 2 shown]
	v_add_f64 v[120:121], v[133:134], v[153:154]
	v_fma_f64 v[122:123], v[137:138], s[6:7], v[135:136]
	v_fma_f64 v[124:125], v[137:138], s[4:5], v[135:136]
	ds_write2_b64 v159, v[60:61], v[64:65] offset1:135
	ds_write2_b64 v164, v[80:81], v[56:57] offset0:14 offset1:194
	ds_write2_b64 v168, v[58:59], v[139:140] offset0:73 offset1:208
	ds_write_b64 v159, v[66:67] offset:9360
	ds_write_b64 v206, v[62:63]
	ds_write_b64 v206, v[88:89] offset:3600
	ds_write_b64 v206, v[68:69] offset:7200
	ds_write2_b64 v207, v[70:71], v[92:93] offset0:32 offset1:167
	ds_write2_b64 v208, v[94:95], v[96:97] offset0:98 offset1:233
	;; [unrolled: 1-line block ×3, first 2 shown]
	ds_write_b64 v72, v[84:85]
	ds_write_b64 v72, v[86:87] offset:3600
	ds_write_b64 v72, v[90:91] offset:7200
	;; [unrolled: 1-line block ×11, first 2 shown]
	s_waitcnt lgkmcnt(0)
	s_barrier
	buffer_gl0_inv
	s_and_saveexec_b32 s0, vcc_lo
	s_cbranch_execz .LBB0_13
; %bb.12:
	v_lshlrev_b32_e32 v72, 1, v105
	v_mul_hi_u32 v251, 0xc22e4507, v104
	v_lshlrev_b64 v[56:57], 4, v[72:73]
	v_lshlrev_b32_e32 v72, 1, v106
	v_add_co_u32 v60, vcc_lo, s8, v56
	v_add_co_ci_u32_e32 v61, vcc_lo, s9, v57, vcc_lo
	v_lshlrev_b64 v[56:57], 4, v[72:73]
	v_add_co_u32 v58, vcc_lo, 0x53c0, v60
	v_add_co_ci_u32_e32 v59, vcc_lo, 0, v61, vcc_lo
	v_lshlrev_b32_e32 v72, 1, v104
	v_add_co_u32 v62, vcc_lo, s8, v56
	v_add_co_ci_u32_e32 v63, vcc_lo, s9, v57, vcc_lo
	v_add_co_u32 v56, vcc_lo, 0x5000, v60
	v_add_co_ci_u32_e32 v57, vcc_lo, 0, v61, vcc_lo
	v_add_co_u32 v60, vcc_lo, 0x5000, v62
	v_lshlrev_b64 v[78:79], 4, v[72:73]
	v_add_co_ci_u32_e32 v61, vcc_lo, 0, v63, vcc_lo
	v_add_co_u32 v62, vcc_lo, 0x53c0, v62
	v_add_co_ci_u32_e32 v63, vcc_lo, 0, v63, vcc_lo
	v_add_co_u32 v84, vcc_lo, s8, v78
	;; [unrolled: 2-line block ×6, first 2 shown]
	s_clause 0x3
	global_load_dwordx4 v[68:71], v[56:57], off offset:960
	global_load_dwordx4 v[64:67], v[58:59], off offset:16
	;; [unrolled: 1-line block ×4, first 2 shown]
	v_lshlrev_b32_e32 v72, 1, v107
	global_load_dwordx4 v[78:81], v[78:79], off offset:960
	v_add_co_ci_u32_e32 v115, vcc_lo, 0, v85, vcc_lo
	global_load_dwordx4 v[82:85], v[82:83], off offset:960
	v_add_co_u32 v90, vcc_lo, 0x53c0, v112
	v_add_co_ci_u32_e32 v91, vcc_lo, 0, v113, vcc_lo
	v_lshlrev_b64 v[86:87], 4, v[72:73]
	v_add_co_u32 v88, vcc_lo, 0x5000, v112
	v_add_co_ci_u32_e32 v89, vcc_lo, 0, v113, vcc_lo
	v_add_co_u32 v94, vcc_lo, 0x53c0, v110
	v_add_co_ci_u32_e32 v95, vcc_lo, 0, v111, vcc_lo
	v_add_co_u32 v110, vcc_lo, s8, v86
	v_lshlrev_b32_e32 v72, 1, v174
	v_add_co_ci_u32_e32 v111, vcc_lo, s9, v87, vcc_lo
	v_add_co_u32 v98, vcc_lo, 0x53c0, v108
	v_add_co_ci_u32_e32 v99, vcc_lo, 0, v109, vcc_lo
	v_add_co_u32 v116, vcc_lo, 0x5000, v110
	v_lshlrev_b64 v[124:125], 4, v[72:73]
	v_add_co_ci_u32_e32 v117, vcc_lo, 0, v111, vcc_lo
	v_add_co_u32 v120, vcc_lo, 0x53c0, v110
	v_add_co_ci_u32_e32 v121, vcc_lo, 0, v111, vcc_lo
	s_clause 0x2
	global_load_dwordx4 v[86:89], v[88:89], off offset:960
	global_load_dwordx4 v[90:93], v[90:91], off offset:16
	global_load_dwordx4 v[94:97], v[94:95], off offset:16
	v_add_co_u32 v131, vcc_lo, s8, v124
	v_lshlrev_b32_e32 v72, 1, v173
	global_load_dwordx4 v[98:101], v[98:99], off offset:16
	v_add_co_ci_u32_e32 v132, vcc_lo, s9, v125, vcc_lo
	s_clause 0x3
	global_load_dwordx4 v[108:111], v[114:115], off offset:960
	global_load_dwordx4 v[112:115], v[102:103], off offset:16
	;; [unrolled: 1-line block ×4, first 2 shown]
	v_add_co_u32 v102, vcc_lo, 0x53c0, v131
	v_lshlrev_b64 v[124:125], 4, v[72:73]
	v_add_co_ci_u32_e32 v103, vcc_lo, 0, v132, vcc_lo
	v_add_co_u32 v131, vcc_lo, 0x5000, v131
	v_add_co_ci_u32_e32 v132, vcc_lo, 0, v132, vcc_lo
	v_add_co_u32 v72, vcc_lo, s8, v124
	v_add_co_ci_u32_e32 v125, vcc_lo, s9, v125, vcc_lo
	s_clause 0x1
	global_load_dwordx4 v[132:135], v[131:132], off offset:960
	global_load_dwordx4 v[136:139], v[102:103], off offset:16
	v_add_co_u32 v102, vcc_lo, 0x5000, v72
	v_add_co_ci_u32_e32 v103, vcc_lo, 0, v125, vcc_lo
	v_add_co_u32 v124, vcc_lo, 0x53c0, v72
	v_lshlrev_b32_e32 v72, 1, v172
	v_add_co_ci_u32_e32 v125, vcc_lo, 0, v125, vcc_lo
	s_clause 0x1
	global_load_dwordx4 v[140:143], v[102:103], off offset:960
	global_load_dwordx4 v[144:147], v[124:125], off offset:16
	v_lshlrev_b64 v[102:103], 4, v[72:73]
	v_mov_b32_e32 v131, v73
	v_add_co_u32 v72, vcc_lo, s8, v102
	v_add_co_ci_u32_e32 v125, vcc_lo, s9, v103, vcc_lo
	v_lshlrev_b64 v[130:131], 4, v[130:131]
	v_add_co_u32 v102, vcc_lo, 0x5000, v72
	v_add_co_ci_u32_e32 v103, vcc_lo, 0, v125, vcc_lo
	v_add_co_u32 v124, vcc_lo, 0x53c0, v72
	v_add_co_ci_u32_e32 v125, vcc_lo, 0, v125, vcc_lo
	s_clause 0x1
	global_load_dwordx4 v[148:151], v[102:103], off offset:960
	global_load_dwordx4 v[152:155], v[124:125], off offset:16
	ds_read2_b64 v[172:175], v165 offset0:62 offset1:197
	ds_read2_b64 v[176:179], v171 offset0:68 offset1:203
	;; [unrolled: 1-line block ×5, first 2 shown]
	ds_read_b64 v[102:103], v126 offset:9720
	ds_read_b64 v[170:171], v159 offset:6480
	ds_read2_b64 v[124:127], v166 offset0:98 offset1:233
	ds_read2_b64 v[192:195], v163 offset0:40 offset1:175
	;; [unrolled: 1-line block ×8, first 2 shown]
	ds_read2_b64 v[156:159], v159 offset1:135
	v_mul_hi_u32 v72, 0xc22e4507, v107
	v_add_co_u32 v169, vcc_lo, s2, v128
	v_add_co_ci_u32_e32 v250, vcc_lo, s3, v129, vcc_lo
	v_add_co_u32 v128, vcc_lo, v169, v130
	v_lshrrev_b32_e32 v72, 10, v72
	v_add_co_ci_u32_e32 v129, vcc_lo, v250, v131, vcc_lo
	v_add_co_u32 v130, vcc_lo, 0x5000, v128
	v_mad_u32_u24 v72, 0xa8c, v72, v107
	v_add_co_ci_u32_e32 v131, vcc_lo, 0, v129, vcc_lo
	v_add_co_u32 v212, vcc_lo, 0xa800, v128
	v_add_co_ci_u32_e32 v213, vcc_lo, 0, v129, vcc_lo
	v_add_co_u32 v214, vcc_lo, 0x800, v128
	;; [unrolled: 2-line block ×15, first 2 shown]
	v_add_co_ci_u32_e32 v245, vcc_lo, 0, v129, vcc_lo
	s_waitcnt vmcnt(15) lgkmcnt(2)
	v_mul_f64 v[234:235], v[80:81], v[163:164]
	v_mul_f64 v[163:164], v[78:79], v[163:164]
	s_waitcnt vmcnt(14)
	v_mul_f64 v[238:239], v[84:85], v[161:162]
	v_mul_f64 v[160:161], v[82:83], v[161:162]
	v_fma_f64 v[78:79], v[46:47], v[78:79], -v[234:235]
	v_fma_f64 v[46:47], v[46:47], v[80:81], v[163:164]
	v_mul_f64 v[234:235], v[70:71], v[174:175]
	v_fma_f64 v[82:83], v[44:45], v[82:83], -v[238:239]
	v_fma_f64 v[44:45], v[44:45], v[84:85], v[160:161]
	v_mul_f64 v[174:175], v[68:69], v[174:175]
	v_lshlrev_b64 v[162:163], 4, v[72:73]
	s_waitcnt vmcnt(13)
	v_mul_f64 v[246:247], v[88:89], v[196:197]
	v_mul_f64 v[196:197], v[86:87], v[196:197]
	s_waitcnt vmcnt(12)
	v_mul_f64 v[248:249], v[92:93], v[200:201]
	v_mul_f64 v[80:81], v[90:91], v[200:201]
	s_waitcnt vmcnt(11) lgkmcnt(1)
	v_mul_f64 v[84:85], v[96:97], v[210:211]
	v_mul_f64 v[160:161], v[94:95], v[210:211]
	s_waitcnt vmcnt(10)
	v_mul_f64 v[200:201], v[100:101], v[208:209]
	v_mul_f64 v[208:209], v[98:99], v[208:209]
	v_add_co_u32 v210, vcc_lo, 0xd000, v128
	v_add_co_ci_u32_e32 v211, vcc_lo, 0, v129, vcc_lo
	v_add_co_u32 v162, vcc_lo, v169, v162
	v_fma_f64 v[68:69], v[50:51], v[68:69], -v[234:235]
	s_waitcnt lgkmcnt(0)
	v_add_f64 v[234:235], v[44:45], v[156:157]
	v_fma_f64 v[50:51], v[50:51], v[70:71], v[174:175]
	v_add_co_ci_u32_e32 v163, vcc_lo, v250, v163, vcc_lo
	v_fma_f64 v[86:87], v[16:17], v[86:87], -v[246:247]
	v_fma_f64 v[16:17], v[16:17], v[88:89], v[196:197]
	v_mul_f64 v[88:89], v[66:67], v[178:179]
	v_fma_f64 v[90:91], v[20:21], v[90:91], -v[248:249]
	v_fma_f64 v[20:21], v[20:21], v[92:93], v[80:81]
	v_mul_f64 v[80:81], v[64:65], v[178:179]
	v_mul_f64 v[92:93], v[58:59], v[172:173]
	;; [unrolled: 1-line block ×5, first 2 shown]
	v_fma_f64 v[84:85], v[38:39], v[94:95], -v[84:85]
	v_fma_f64 v[38:39], v[38:39], v[96:97], v[160:161]
	v_fma_f64 v[94:95], v[36:37], v[98:99], -v[200:201]
	v_fma_f64 v[36:37], v[36:37], v[100:101], v[208:209]
	s_waitcnt vmcnt(9)
	v_mul_f64 v[96:97], v[110:111], v[186:187]
	v_mul_f64 v[100:101], v[108:109], v[186:187]
	s_waitcnt vmcnt(8)
	v_mul_f64 v[98:99], v[114:115], v[190:191]
	v_mul_f64 v[160:161], v[112:113], v[190:191]
	s_waitcnt vmcnt(7)
	v_mul_f64 v[186:187], v[118:119], v[184:185]
	s_waitcnt vmcnt(6)
	v_mul_f64 v[190:191], v[122:123], v[188:189]
	v_mul_f64 v[184:185], v[116:117], v[184:185]
	;; [unrolled: 1-line block ×3, first 2 shown]
	s_waitcnt vmcnt(5)
	v_mul_f64 v[196:197], v[134:135], v[126:127]
	s_waitcnt vmcnt(4)
	v_mul_f64 v[200:201], v[138:139], v[194:195]
	v_mul_f64 v[126:127], v[132:133], v[126:127]
	;; [unrolled: 1-line block ×3, first 2 shown]
	v_fma_f64 v[64:65], v[54:55], v[64:65], -v[88:89]
	v_fma_f64 v[54:55], v[54:55], v[66:67], v[80:81]
	s_waitcnt vmcnt(3)
	v_mul_f64 v[66:67], v[142:143], v[124:125]
	s_waitcnt vmcnt(2)
	v_mul_f64 v[80:81], v[146:147], v[192:193]
	v_mul_f64 v[88:89], v[140:141], v[124:125]
	;; [unrolled: 1-line block ×3, first 2 shown]
	v_fma_f64 v[56:57], v[48:49], v[56:57], -v[92:93]
	v_fma_f64 v[60:61], v[52:53], v[60:61], -v[178:179]
	v_fma_f64 v[48:49], v[48:49], v[58:59], v[172:173]
	v_fma_f64 v[52:53], v[52:53], v[62:63], v[176:177]
	v_add_f64 v[58:59], v[86:87], -v[90:91]
	v_add_f64 v[62:63], v[16:17], v[20:21]
	v_add_f64 v[92:93], v[16:17], v[204:205]
	;; [unrolled: 1-line block ×3, first 2 shown]
	v_add_f64 v[174:175], v[16:17], -v[20:21]
	v_add_f64 v[16:17], v[0:1], v[86:87]
	v_add_f64 v[86:87], v[78:79], -v[84:85]
	v_add_f64 v[176:177], v[46:47], v[38:39]
	v_add_f64 v[178:179], v[46:47], v[158:159]
	;; [unrolled: 1-line block ×3, first 2 shown]
	v_add_f64 v[194:195], v[46:47], -v[38:39]
	v_add_f64 v[46:47], v[10:11], v[78:79]
	v_add_f64 v[78:79], v[82:83], -v[94:95]
	v_add_f64 v[208:209], v[44:45], v[36:37]
	v_fma_f64 v[96:97], v[34:35], v[108:109], -v[96:97]
	v_fma_f64 v[34:35], v[34:35], v[110:111], v[100:101]
	v_add_f64 v[100:101], v[82:83], v[94:95]
	v_add_f64 v[107:108], v[44:45], -v[36:37]
	v_add_f64 v[44:45], v[8:9], v[82:83]
	s_waitcnt vmcnt(1)
	v_mul_f64 v[82:83], v[150:151], v[198:199]
	v_mul_f64 v[109:110], v[148:149], v[198:199]
	s_waitcnt vmcnt(0)
	v_mul_f64 v[198:199], v[154:155], v[202:203]
	v_mul_f64 v[202:203], v[152:153], v[202:203]
	v_fma_f64 v[98:99], v[42:43], v[112:113], -v[98:99]
	v_fma_f64 v[111:112], v[42:43], v[114:115], v[160:161]
	v_fma_f64 v[42:43], v[32:33], v[116:117], -v[186:187]
	v_fma_f64 v[113:114], v[40:41], v[120:121], -v[190:191]
	v_fma_f64 v[32:33], v[32:33], v[118:119], v[184:185]
	v_fma_f64 v[115:116], v[40:41], v[122:123], v[188:189]
	v_fma_f64 v[40:41], v[26:27], v[132:133], -v[196:197]
	v_fma_f64 v[117:118], v[30:31], v[136:137], -v[200:201]
	v_fma_f64 v[119:120], v[26:27], v[134:135], v[126:127]
	v_fma_f64 v[70:71], v[30:31], v[138:139], v[70:71]
	v_add_f64 v[121:122], v[68:69], -v[64:65]
	v_add_f64 v[126:127], v[50:51], v[54:55]
	v_add_f64 v[132:133], v[50:51], v[102:103]
	;; [unrolled: 1-line block ×3, first 2 shown]
	v_add_f64 v[136:137], v[50:51], -v[54:55]
	v_add_f64 v[50:51], v[76:77], v[68:69]
	v_fma_f64 v[66:67], v[24:25], v[140:141], -v[66:67]
	v_fma_f64 v[68:69], v[28:29], v[144:145], -v[80:81]
	v_fma_f64 v[80:81], v[24:25], v[142:143], v[88:89]
	v_fma_f64 v[88:89], v[28:29], v[146:147], v[124:125]
	v_add_f64 v[26:27], v[20:21], v[92:93]
	v_fma_f64 v[0:1], v[172:173], -0.5, v[0:1]
	v_add_f64 v[30:31], v[38:39], v[178:179]
	v_add_f64 v[28:29], v[46:47], v[84:85]
	v_fma_f64 v[92:93], v[100:101], -0.5, v[8:9]
	v_add_f64 v[8:9], v[44:45], v[94:95]
	v_fma_f64 v[82:83], v[18:19], v[148:149], -v[82:83]
	v_fma_f64 v[94:95], v[22:23], v[152:153], -v[198:199]
	v_fma_f64 v[100:101], v[18:19], v[150:151], v[109:110]
	v_fma_f64 v[109:110], v[22:23], v[154:155], v[202:203]
	v_add_f64 v[140:141], v[48:49], v[182:183]
	v_fma_f64 v[84:85], v[208:209], -0.5, v[156:157]
	v_add_f64 v[123:124], v[56:57], -v[60:61]
	v_add_f64 v[138:139], v[48:49], v[52:53]
	v_add_f64 v[142:143], v[56:57], v[60:61]
	v_add_f64 v[144:145], v[48:49], -v[52:53]
	v_add_f64 v[48:49], v[14:15], v[56:57]
	v_fma_f64 v[56:57], v[62:63], -0.5, v[204:205]
	v_fma_f64 v[62:63], v[176:177], -0.5, v[158:159]
	v_add_f64 v[186:187], v[119:120], v[70:71]
	v_add_f64 v[190:191], v[40:41], v[117:118]
	;; [unrolled: 1-line block ×3, first 2 shown]
	v_fma_f64 v[90:91], v[192:193], -0.5, v[10:11]
	v_add_f64 v[10:11], v[36:37], v[234:235]
	v_add_f64 v[146:147], v[96:97], -v[98:99]
	v_add_f64 v[150:151], v[34:35], v[180:181]
	v_add_f64 v[152:153], v[96:97], v[98:99]
	;; [unrolled: 1-line block ×4, first 2 shown]
	v_fma_f64 v[102:103], v[126:127], -0.5, v[102:103]
	v_fma_f64 v[76:77], v[134:135], -0.5, v[76:77]
	v_add_f64 v[125:126], v[80:81], v[88:89]
	v_add_f64 v[134:135], v[66:67], v[68:69]
	;; [unrolled: 1-line block ×4, first 2 shown]
	v_add_f64 v[176:177], v[32:33], -v[115:116]
	v_add_f64 v[178:179], v[74:75], v[42:43]
	v_fma_f64 v[32:33], v[174:175], s[6:7], v[0:1]
	v_fma_f64 v[36:37], v[174:175], s[4:5], v[0:1]
	v_add_f64 v[0:1], v[100:101], v[109:110]
	global_store_dwordx4 v[214:215], v[28:31], off offset:112
	v_add_f64 v[28:29], v[82:83], v[94:95]
	v_add_f64 v[188:189], v[119:120], v[167:168]
	;; [unrolled: 1-line block ×5, first 2 shown]
	v_add_f64 v[64:65], v[66:67], -v[68:69]
	v_add_f64 v[132:133], v[80:81], v[165:166]
	v_add_f64 v[66:67], v[4:5], v[66:67]
	;; [unrolled: 1-line block ×3, first 2 shown]
	v_fma_f64 v[50:51], v[78:79], s[4:5], v[84:85]
	v_fma_f64 v[54:55], v[78:79], s[6:7], v[84:85]
	;; [unrolled: 1-line block ×3, first 2 shown]
	v_add_f64 v[78:79], v[82:83], -v[94:95]
	v_add_f64 v[84:85], v[100:101], v[206:207]
	v_add_f64 v[82:83], v[2:3], v[82:83]
	v_add_f64 v[156:157], v[42:43], -v[113:114]
	v_add_f64 v[184:185], v[40:41], -v[117:118]
	;; [unrolled: 1-line block ×3, first 2 shown]
	v_add_f64 v[20:21], v[48:49], v[60:61]
	v_fma_f64 v[42:43], v[86:87], s[4:5], v[62:63]
	v_fma_f64 v[46:47], v[86:87], s[6:7], v[62:63]
	;; [unrolled: 1-line block ×3, first 2 shown]
	v_add_f64 v[86:87], v[100:101], -v[109:110]
	v_fma_f64 v[100:101], v[186:187], -0.5, v[167:168]
	v_fma_f64 v[107:108], v[190:191], -0.5, v[6:7]
	v_add_f64 v[148:149], v[34:35], v[111:112]
	v_add_f64 v[154:155], v[34:35], -v[111:112]
	v_add_f64 v[80:81], v[80:81], -v[88:89]
	global_store_dwordx4 v[128:129], v[8:11], off
	v_add_f64 v[10:11], v[111:112], v[150:151]
	v_add_f64 v[8:9], v[96:97], v[98:99]
	v_fma_f64 v[98:99], v[172:173], -0.5, v[74:75]
	v_fma_f64 v[74:75], v[125:126], -0.5, v[165:166]
	;; [unrolled: 1-line block ×5, first 2 shown]
	v_add_f64 v[14:15], v[115:116], v[160:161]
	v_add_f64 v[12:13], v[178:179], v[113:114]
	v_fma_f64 v[113:114], v[0:1], -0.5, v[206:207]
	v_fma_f64 v[115:116], v[28:29], -0.5, v[2:3]
	v_fma_f64 v[44:45], v[194:195], s[4:5], v[90:91]
	v_fma_f64 v[96:97], v[158:159], -0.5, v[170:171]
	v_fma_f64 v[40:41], v[194:195], s[6:7], v[90:91]
	v_fma_f64 v[38:39], v[58:59], s[6:7], v[56:57]
	;; [unrolled: 1-line block ×3, first 2 shown]
	v_add_f64 v[6:7], v[70:71], v[188:189]
	v_add_f64 v[4:5], v[192:193], v[117:118]
	;; [unrolled: 1-line block ×4, first 2 shown]
	global_store_dwordx4 v[220:221], v[24:27], off offset:224
	global_store_dwordx4 v[130:131], v[52:55], off offset:1120
	;; [unrolled: 1-line block ×3, first 2 shown]
	v_add_f64 v[50:51], v[109:110], v[84:85]
	v_add_f64 v[48:49], v[82:83], v[94:95]
	v_fma_f64 v[54:55], v[184:185], s[6:7], v[100:101]
	v_fma_f64 v[52:53], v[119:120], s[4:5], v[107:108]
	;; [unrolled: 1-line block ×12, first 2 shown]
	v_fma_f64 v[90:91], v[148:149], -0.5, v[180:181]
	v_fma_f64 v[84:85], v[184:185], s[4:5], v[100:101]
	v_fma_f64 v[82:83], v[119:120], s[6:7], v[107:108]
	global_store_dwordx4 v[216:217], v[44:47], off offset:1232
	global_store_dwordx4 v[218:219], v[40:43], off offset:304
	;; [unrolled: 1-line block ×4, first 2 shown]
	v_fma_f64 v[46:47], v[156:157], s[6:7], v[96:97]
	v_fma_f64 v[44:45], v[176:177], s[4:5], v[98:99]
	;; [unrolled: 1-line block ×4, first 2 shown]
	global_store_dwordx4 v[242:243], v[4:7], off offset:560
	global_store_dwordx4 v[232:233], v[28:31], off offset:448
	global_store_dwordx4 v[226:227], v[48:51], off offset:336
	global_store_dwordx4 v[244:245], v[52:55], off offset:1680
	global_store_dwordx4 v[236:237], v[68:71], off offset:1568
	global_store_dwordx4 v[240:241], v[64:67], off offset:640
	global_store_dwordx4 v[228:229], v[78:81], off offset:1456
	global_store_dwordx4 v[230:231], v[74:77], off offset:528
	v_lshrrev_b32_e32 v6, 10, v251
	v_add_co_u32 v4, vcc_lo, 0x5000, v162
	v_mul_hi_u32 v30, 0xc22e4507, v106
	v_fma_f64 v[138:139], v[138:139], -0.5, v[182:183]
	v_mad_u32_u24 v72, 0xa8c, v6, v104
	v_add_co_ci_u32_e32 v5, vcc_lo, 0, v163, vcc_lo
	v_add_co_u32 v6, vcc_lo, 0xa800, v162
	v_lshlrev_b64 v[28:29], 4, v[72:73]
	v_add_co_ci_u32_e32 v7, vcc_lo, 0, v163, vcc_lo
	v_fma_f64 v[38:39], v[146:147], s[6:7], v[90:91]
	v_fma_f64 v[36:37], v[154:155], s[4:5], v[92:93]
	;; [unrolled: 1-line block ×4, first 2 shown]
	global_store_dwordx4 v[210:211], v[82:85], off offset:752
	global_store_dwordx4 v[162:163], v[12:15], off
	global_store_dwordx4 v[4:5], v[44:47], off offset:1120
	global_store_dwordx4 v[6:7], v[40:43], off offset:192
	v_lshrrev_b32_e32 v6, 10, v30
	v_add_co_u32 v4, vcc_lo, v169, v28
	v_mul_hi_u32 v28, 0xc22e4507, v105
	v_add_co_ci_u32_e32 v5, vcc_lo, v250, v29, vcc_lo
	v_mad_u32_u24 v72, 0xa8c, v6, v106
	v_add_co_u32 v6, vcc_lo, 0x5000, v4
	v_add_co_ci_u32_e32 v7, vcc_lo, 0, v5, vcc_lo
	v_lshlrev_b64 v[12:13], 4, v[72:73]
	v_lshrrev_b32_e32 v28, 10, v28
	v_add_co_u32 v14, vcc_lo, 0xa800, v4
	v_add_co_ci_u32_e32 v15, vcc_lo, 0, v5, vcc_lo
	v_mad_u32_u24 v72, 0xa8c, v28, v105
	v_fma_f64 v[62:63], v[123:124], s[6:7], v[138:139]
	v_fma_f64 v[60:61], v[144:145], s[4:5], v[140:141]
	v_add_co_u32 v12, vcc_lo, v169, v12
	v_fma_f64 v[58:59], v[123:124], s[4:5], v[138:139]
	v_fma_f64 v[56:57], v[144:145], s[6:7], v[140:141]
	v_add_co_ci_u32_e32 v13, vcc_lo, v250, v13, vcc_lo
	v_fma_f64 v[2:3], v[121:122], s[6:7], v[102:103]
	v_fma_f64 v[26:27], v[121:122], s[4:5], v[102:103]
	global_store_dwordx4 v[4:5], v[8:11], off
	global_store_dwordx4 v[6:7], v[36:39], off offset:1120
	global_store_dwordx4 v[14:15], v[32:35], off offset:192
	global_store_dwordx4 v[12:13], v[20:23], off
	v_lshlrev_b64 v[4:5], 4, v[72:73]
	v_add_co_u32 v6, vcc_lo, 0x5000, v12
	v_add_co_ci_u32_e32 v7, vcc_lo, 0, v13, vcc_lo
	v_add_co_u32 v4, vcc_lo, v169, v4
	v_add_co_ci_u32_e32 v5, vcc_lo, v250, v5, vcc_lo
	;; [unrolled: 2-line block ×5, first 2 shown]
	global_store_dwordx4 v[6:7], v[60:63], off offset:1120
	global_store_dwordx4 v[8:9], v[56:59], off offset:192
	global_store_dwordx4 v[4:5], v[16:19], off
	global_store_dwordx4 v[10:11], v[0:3], off offset:1120
	global_store_dwordx4 v[12:13], v[24:27], off offset:192
.LBB0_13:
	s_endpgm
	.section	.rodata,"a",@progbits
	.p2align	6, 0x0
	.amdhsa_kernel fft_rtc_fwd_len4050_factors_10_5_3_3_3_3_wgs_135_tpt_135_halfLds_dp_ip_CI_unitstride_sbrr_dirReg
		.amdhsa_group_segment_fixed_size 0
		.amdhsa_private_segment_fixed_size 0
		.amdhsa_kernarg_size 88
		.amdhsa_user_sgpr_count 6
		.amdhsa_user_sgpr_private_segment_buffer 1
		.amdhsa_user_sgpr_dispatch_ptr 0
		.amdhsa_user_sgpr_queue_ptr 0
		.amdhsa_user_sgpr_kernarg_segment_ptr 1
		.amdhsa_user_sgpr_dispatch_id 0
		.amdhsa_user_sgpr_flat_scratch_init 0
		.amdhsa_user_sgpr_private_segment_size 0
		.amdhsa_wavefront_size32 1
		.amdhsa_uses_dynamic_stack 0
		.amdhsa_system_sgpr_private_segment_wavefront_offset 0
		.amdhsa_system_sgpr_workgroup_id_x 1
		.amdhsa_system_sgpr_workgroup_id_y 0
		.amdhsa_system_sgpr_workgroup_id_z 0
		.amdhsa_system_sgpr_workgroup_info 0
		.amdhsa_system_vgpr_workitem_id 0
		.amdhsa_next_free_vgpr 252
		.amdhsa_next_free_sgpr 21
		.amdhsa_reserve_vcc 1
		.amdhsa_reserve_flat_scratch 0
		.amdhsa_float_round_mode_32 0
		.amdhsa_float_round_mode_16_64 0
		.amdhsa_float_denorm_mode_32 3
		.amdhsa_float_denorm_mode_16_64 3
		.amdhsa_dx10_clamp 1
		.amdhsa_ieee_mode 1
		.amdhsa_fp16_overflow 0
		.amdhsa_workgroup_processor_mode 1
		.amdhsa_memory_ordered 1
		.amdhsa_forward_progress 0
		.amdhsa_shared_vgpr_count 0
		.amdhsa_exception_fp_ieee_invalid_op 0
		.amdhsa_exception_fp_denorm_src 0
		.amdhsa_exception_fp_ieee_div_zero 0
		.amdhsa_exception_fp_ieee_overflow 0
		.amdhsa_exception_fp_ieee_underflow 0
		.amdhsa_exception_fp_ieee_inexact 0
		.amdhsa_exception_int_div_zero 0
	.end_amdhsa_kernel
	.text
.Lfunc_end0:
	.size	fft_rtc_fwd_len4050_factors_10_5_3_3_3_3_wgs_135_tpt_135_halfLds_dp_ip_CI_unitstride_sbrr_dirReg, .Lfunc_end0-fft_rtc_fwd_len4050_factors_10_5_3_3_3_3_wgs_135_tpt_135_halfLds_dp_ip_CI_unitstride_sbrr_dirReg
                                        ; -- End function
	.section	.AMDGPU.csdata,"",@progbits
; Kernel info:
; codeLenInByte = 25432
; NumSgprs: 23
; NumVgprs: 252
; ScratchSize: 0
; MemoryBound: 1
; FloatMode: 240
; IeeeMode: 1
; LDSByteSize: 0 bytes/workgroup (compile time only)
; SGPRBlocks: 2
; VGPRBlocks: 31
; NumSGPRsForWavesPerEU: 23
; NumVGPRsForWavesPerEU: 252
; Occupancy: 4
; WaveLimiterHint : 1
; COMPUTE_PGM_RSRC2:SCRATCH_EN: 0
; COMPUTE_PGM_RSRC2:USER_SGPR: 6
; COMPUTE_PGM_RSRC2:TRAP_HANDLER: 0
; COMPUTE_PGM_RSRC2:TGID_X_EN: 1
; COMPUTE_PGM_RSRC2:TGID_Y_EN: 0
; COMPUTE_PGM_RSRC2:TGID_Z_EN: 0
; COMPUTE_PGM_RSRC2:TIDIG_COMP_CNT: 0
	.text
	.p2alignl 6, 3214868480
	.fill 48, 4, 3214868480
	.type	__hip_cuid_bf2d7d44f59f0c78,@object ; @__hip_cuid_bf2d7d44f59f0c78
	.section	.bss,"aw",@nobits
	.globl	__hip_cuid_bf2d7d44f59f0c78
__hip_cuid_bf2d7d44f59f0c78:
	.byte	0                               ; 0x0
	.size	__hip_cuid_bf2d7d44f59f0c78, 1

	.ident	"AMD clang version 19.0.0git (https://github.com/RadeonOpenCompute/llvm-project roc-6.4.0 25133 c7fe45cf4b819c5991fe208aaa96edf142730f1d)"
	.section	".note.GNU-stack","",@progbits
	.addrsig
	.addrsig_sym __hip_cuid_bf2d7d44f59f0c78
	.amdgpu_metadata
---
amdhsa.kernels:
  - .args:
      - .actual_access:  read_only
        .address_space:  global
        .offset:         0
        .size:           8
        .value_kind:     global_buffer
      - .offset:         8
        .size:           8
        .value_kind:     by_value
      - .actual_access:  read_only
        .address_space:  global
        .offset:         16
        .size:           8
        .value_kind:     global_buffer
      - .actual_access:  read_only
        .address_space:  global
        .offset:         24
        .size:           8
        .value_kind:     global_buffer
      - .offset:         32
        .size:           8
        .value_kind:     by_value
      - .actual_access:  read_only
        .address_space:  global
        .offset:         40
        .size:           8
        .value_kind:     global_buffer
      - .actual_access:  read_only
        .address_space:  global
        .offset:         48
        .size:           8
        .value_kind:     global_buffer
      - .offset:         56
        .size:           4
        .value_kind:     by_value
      - .actual_access:  read_only
        .address_space:  global
        .offset:         64
        .size:           8
        .value_kind:     global_buffer
      - .actual_access:  read_only
        .address_space:  global
        .offset:         72
        .size:           8
        .value_kind:     global_buffer
      - .address_space:  global
        .offset:         80
        .size:           8
        .value_kind:     global_buffer
    .group_segment_fixed_size: 0
    .kernarg_segment_align: 8
    .kernarg_segment_size: 88
    .language:       OpenCL C
    .language_version:
      - 2
      - 0
    .max_flat_workgroup_size: 135
    .name:           fft_rtc_fwd_len4050_factors_10_5_3_3_3_3_wgs_135_tpt_135_halfLds_dp_ip_CI_unitstride_sbrr_dirReg
    .private_segment_fixed_size: 0
    .sgpr_count:     23
    .sgpr_spill_count: 0
    .symbol:         fft_rtc_fwd_len4050_factors_10_5_3_3_3_3_wgs_135_tpt_135_halfLds_dp_ip_CI_unitstride_sbrr_dirReg.kd
    .uniform_work_group_size: 1
    .uses_dynamic_stack: false
    .vgpr_count:     252
    .vgpr_spill_count: 0
    .wavefront_size: 32
    .workgroup_processor_mode: 1
amdhsa.target:   amdgcn-amd-amdhsa--gfx1030
amdhsa.version:
  - 1
  - 2
...

	.end_amdgpu_metadata
